;; amdgpu-corpus repo=ROCm/rocFFT kind=compiled arch=gfx1030 opt=O3
	.text
	.amdgcn_target "amdgcn-amd-amdhsa--gfx1030"
	.amdhsa_code_object_version 6
	.protected	fft_rtc_fwd_len1014_factors_13_6_13_wgs_156_tpt_78_half_op_CI_CI_sbrr_dirReg ; -- Begin function fft_rtc_fwd_len1014_factors_13_6_13_wgs_156_tpt_78_half_op_CI_CI_sbrr_dirReg
	.globl	fft_rtc_fwd_len1014_factors_13_6_13_wgs_156_tpt_78_half_op_CI_CI_sbrr_dirReg
	.p2align	8
	.type	fft_rtc_fwd_len1014_factors_13_6_13_wgs_156_tpt_78_half_op_CI_CI_sbrr_dirReg,@function
fft_rtc_fwd_len1014_factors_13_6_13_wgs_156_tpt_78_half_op_CI_CI_sbrr_dirReg: ; @fft_rtc_fwd_len1014_factors_13_6_13_wgs_156_tpt_78_half_op_CI_CI_sbrr_dirReg
; %bb.0:
	s_clause 0x2
	s_load_dwordx4 s[16:19], s[4:5], 0x18
	s_load_dwordx4 s[12:15], s[4:5], 0x0
	;; [unrolled: 1-line block ×3, first 2 shown]
	v_mul_u32_u24_e32 v1, 0x349, v0
	v_mov_b32_e32 v7, 0
	v_mov_b32_e32 v5, 0
	;; [unrolled: 1-line block ×3, first 2 shown]
	s_waitcnt lgkmcnt(0)
	s_load_dwordx2 s[20:21], s[16:17], 0x0
	s_load_dwordx2 s[2:3], s[18:19], 0x0
	v_lshrrev_b32_e32 v11, 16, v1
	v_cmp_lt_u64_e64 s0, s[14:15], 2
	v_mov_b32_e32 v10, v7
	v_lshl_add_u32 v9, s6, 1, v11
	s_and_b32 vcc_lo, exec_lo, s0
	s_cbranch_vccnz .LBB0_8
; %bb.1:
	s_load_dwordx2 s[0:1], s[4:5], 0x10
	v_mov_b32_e32 v5, 0
	v_mov_b32_e32 v6, 0
	s_add_u32 s6, s18, 8
	s_addc_u32 s7, s19, 0
	v_mov_b32_e32 v1, v5
	s_add_u32 s22, s16, 8
	v_mov_b32_e32 v2, v6
	s_addc_u32 s23, s17, 0
	s_mov_b64 s[26:27], 1
	s_waitcnt lgkmcnt(0)
	s_add_u32 s24, s0, 8
	s_addc_u32 s25, s1, 0
.LBB0_2:                                ; =>This Inner Loop Header: Depth=1
	s_load_dwordx2 s[28:29], s[24:25], 0x0
                                        ; implicit-def: $vgpr3_vgpr4
	s_mov_b32 s0, exec_lo
	s_waitcnt lgkmcnt(0)
	v_or_b32_e32 v8, s29, v10
	v_cmpx_ne_u64_e32 0, v[7:8]
	s_xor_b32 s1, exec_lo, s0
	s_cbranch_execz .LBB0_4
; %bb.3:                                ;   in Loop: Header=BB0_2 Depth=1
	v_cvt_f32_u32_e32 v3, s28
	v_cvt_f32_u32_e32 v4, s29
	s_sub_u32 s0, 0, s28
	s_subb_u32 s30, 0, s29
	v_fmac_f32_e32 v3, 0x4f800000, v4
	v_rcp_f32_e32 v3, v3
	v_mul_f32_e32 v3, 0x5f7ffffc, v3
	v_mul_f32_e32 v4, 0x2f800000, v3
	v_trunc_f32_e32 v4, v4
	v_fmac_f32_e32 v3, 0xcf800000, v4
	v_cvt_u32_f32_e32 v4, v4
	v_cvt_u32_f32_e32 v3, v3
	v_mul_lo_u32 v8, s0, v4
	v_mul_hi_u32 v12, s0, v3
	v_mul_lo_u32 v13, s30, v3
	v_add_nc_u32_e32 v8, v12, v8
	v_mul_lo_u32 v12, s0, v3
	v_add_nc_u32_e32 v8, v8, v13
	v_mul_hi_u32 v13, v3, v12
	v_mul_lo_u32 v14, v3, v8
	v_mul_hi_u32 v15, v3, v8
	v_mul_hi_u32 v16, v4, v12
	v_mul_lo_u32 v12, v4, v12
	v_mul_hi_u32 v17, v4, v8
	v_mul_lo_u32 v8, v4, v8
	v_add_co_u32 v13, vcc_lo, v13, v14
	v_add_co_ci_u32_e32 v14, vcc_lo, 0, v15, vcc_lo
	v_add_co_u32 v12, vcc_lo, v13, v12
	v_add_co_ci_u32_e32 v12, vcc_lo, v14, v16, vcc_lo
	v_add_co_ci_u32_e32 v13, vcc_lo, 0, v17, vcc_lo
	v_add_co_u32 v8, vcc_lo, v12, v8
	v_add_co_ci_u32_e32 v12, vcc_lo, 0, v13, vcc_lo
	v_add_co_u32 v3, vcc_lo, v3, v8
	v_add_co_ci_u32_e32 v4, vcc_lo, v4, v12, vcc_lo
	v_mul_hi_u32 v8, s0, v3
	v_mul_lo_u32 v13, s30, v3
	v_mul_lo_u32 v12, s0, v4
	v_add_nc_u32_e32 v8, v8, v12
	v_mul_lo_u32 v12, s0, v3
	v_add_nc_u32_e32 v8, v8, v13
	v_mul_hi_u32 v13, v3, v12
	v_mul_lo_u32 v14, v3, v8
	v_mul_hi_u32 v15, v3, v8
	v_mul_hi_u32 v16, v4, v12
	v_mul_lo_u32 v12, v4, v12
	v_mul_hi_u32 v17, v4, v8
	v_mul_lo_u32 v8, v4, v8
	v_add_co_u32 v13, vcc_lo, v13, v14
	v_add_co_ci_u32_e32 v14, vcc_lo, 0, v15, vcc_lo
	v_add_co_u32 v12, vcc_lo, v13, v12
	v_add_co_ci_u32_e32 v12, vcc_lo, v14, v16, vcc_lo
	v_add_co_ci_u32_e32 v13, vcc_lo, 0, v17, vcc_lo
	v_add_co_u32 v8, vcc_lo, v12, v8
	v_add_co_ci_u32_e32 v12, vcc_lo, 0, v13, vcc_lo
	v_add_co_u32 v8, vcc_lo, v3, v8
	v_add_co_ci_u32_e32 v14, vcc_lo, v4, v12, vcc_lo
	v_mul_hi_u32 v16, v9, v8
	v_mad_u64_u32 v[12:13], null, v10, v8, 0
	v_mad_u64_u32 v[3:4], null, v9, v14, 0
	;; [unrolled: 1-line block ×3, first 2 shown]
	v_add_co_u32 v3, vcc_lo, v16, v3
	v_add_co_ci_u32_e32 v4, vcc_lo, 0, v4, vcc_lo
	v_add_co_u32 v3, vcc_lo, v3, v12
	v_add_co_ci_u32_e32 v3, vcc_lo, v4, v13, vcc_lo
	v_add_co_ci_u32_e32 v4, vcc_lo, 0, v15, vcc_lo
	v_add_co_u32 v8, vcc_lo, v3, v14
	v_add_co_ci_u32_e32 v12, vcc_lo, 0, v4, vcc_lo
	v_mul_lo_u32 v13, s29, v8
	v_mad_u64_u32 v[3:4], null, s28, v8, 0
	v_mul_lo_u32 v14, s28, v12
	v_sub_co_u32 v3, vcc_lo, v9, v3
	v_add3_u32 v4, v4, v14, v13
	v_sub_nc_u32_e32 v13, v10, v4
	v_subrev_co_ci_u32_e64 v13, s0, s29, v13, vcc_lo
	v_add_co_u32 v14, s0, v8, 2
	v_add_co_ci_u32_e64 v15, s0, 0, v12, s0
	v_sub_co_u32 v16, s0, v3, s28
	v_sub_co_ci_u32_e32 v4, vcc_lo, v10, v4, vcc_lo
	v_subrev_co_ci_u32_e64 v13, s0, 0, v13, s0
	v_cmp_le_u32_e32 vcc_lo, s28, v16
	v_cmp_eq_u32_e64 s0, s29, v4
	v_cndmask_b32_e64 v16, 0, -1, vcc_lo
	v_cmp_le_u32_e32 vcc_lo, s29, v13
	v_cndmask_b32_e64 v17, 0, -1, vcc_lo
	v_cmp_le_u32_e32 vcc_lo, s28, v3
	v_cndmask_b32_e64 v3, 0, -1, vcc_lo
	v_cmp_le_u32_e32 vcc_lo, s29, v4
	v_cndmask_b32_e64 v18, 0, -1, vcc_lo
	v_cmp_eq_u32_e32 vcc_lo, s29, v13
	v_cndmask_b32_e64 v3, v18, v3, s0
	v_cndmask_b32_e32 v13, v17, v16, vcc_lo
	v_add_co_u32 v16, vcc_lo, v8, 1
	v_add_co_ci_u32_e32 v17, vcc_lo, 0, v12, vcc_lo
	v_cmp_ne_u32_e32 vcc_lo, 0, v13
	v_cndmask_b32_e32 v4, v17, v15, vcc_lo
	v_cndmask_b32_e32 v13, v16, v14, vcc_lo
	v_cmp_ne_u32_e32 vcc_lo, 0, v3
	v_cndmask_b32_e32 v4, v12, v4, vcc_lo
	v_cndmask_b32_e32 v3, v8, v13, vcc_lo
.LBB0_4:                                ;   in Loop: Header=BB0_2 Depth=1
	s_andn2_saveexec_b32 s0, s1
	s_cbranch_execz .LBB0_6
; %bb.5:                                ;   in Loop: Header=BB0_2 Depth=1
	v_cvt_f32_u32_e32 v3, s28
	s_sub_i32 s1, 0, s28
	v_rcp_iflag_f32_e32 v3, v3
	v_mul_f32_e32 v3, 0x4f7ffffe, v3
	v_cvt_u32_f32_e32 v3, v3
	v_mul_lo_u32 v4, s1, v3
	v_mul_hi_u32 v4, v3, v4
	v_add_nc_u32_e32 v3, v3, v4
	v_mul_hi_u32 v3, v9, v3
	v_mul_lo_u32 v4, v3, s28
	v_add_nc_u32_e32 v8, 1, v3
	v_sub_nc_u32_e32 v4, v9, v4
	v_subrev_nc_u32_e32 v12, s28, v4
	v_cmp_le_u32_e32 vcc_lo, s28, v4
	v_cndmask_b32_e32 v4, v4, v12, vcc_lo
	v_cndmask_b32_e32 v3, v3, v8, vcc_lo
	v_cmp_le_u32_e32 vcc_lo, s28, v4
	v_add_nc_u32_e32 v8, 1, v3
	v_mov_b32_e32 v4, v7
	v_cndmask_b32_e32 v3, v3, v8, vcc_lo
.LBB0_6:                                ;   in Loop: Header=BB0_2 Depth=1
	s_or_b32 exec_lo, exec_lo, s0
	v_mul_lo_u32 v8, v4, s28
	v_mul_lo_u32 v14, v3, s29
	s_load_dwordx2 s[0:1], s[22:23], 0x0
	v_mad_u64_u32 v[12:13], null, v3, s28, 0
	s_load_dwordx2 s[28:29], s[6:7], 0x0
	s_add_u32 s26, s26, 1
	s_addc_u32 s27, s27, 0
	s_add_u32 s6, s6, 8
	s_addc_u32 s7, s7, 0
	s_add_u32 s22, s22, 8
	v_add3_u32 v8, v13, v14, v8
	v_sub_co_u32 v9, vcc_lo, v9, v12
	s_addc_u32 s23, s23, 0
	s_add_u32 s24, s24, 8
	v_sub_co_ci_u32_e32 v8, vcc_lo, v10, v8, vcc_lo
	s_addc_u32 s25, s25, 0
	s_waitcnt lgkmcnt(0)
	v_mul_lo_u32 v10, s0, v8
	v_mul_lo_u32 v12, s1, v9
	v_mad_u64_u32 v[5:6], null, s0, v9, v[5:6]
	v_mul_lo_u32 v8, s28, v8
	v_mul_lo_u32 v13, s29, v9
	v_mad_u64_u32 v[1:2], null, s28, v9, v[1:2]
	v_cmp_ge_u64_e64 s0, s[26:27], s[14:15]
	v_add3_u32 v6, v12, v6, v10
	v_add3_u32 v2, v13, v2, v8
	s_and_b32 vcc_lo, exec_lo, s0
	s_cbranch_vccnz .LBB0_9
; %bb.7:                                ;   in Loop: Header=BB0_2 Depth=1
	v_mov_b32_e32 v10, v4
	v_mov_b32_e32 v9, v3
	s_branch .LBB0_2
.LBB0_8:
	v_mov_b32_e32 v1, v5
	v_mov_b32_e32 v3, v9
	;; [unrolled: 1-line block ×4, first 2 shown]
.LBB0_9:
	s_load_dwordx2 s[0:1], s[4:5], 0x28
	v_mul_hi_u32 v37, 0x3483484, v0
	s_lshl_b64 s[6:7], s[14:15], 3
                                        ; implicit-def: $sgpr14
                                        ; implicit-def: $vgpr20
                                        ; implicit-def: $vgpr22
                                        ; implicit-def: $vgpr21
	s_add_u32 s4, s18, s6
	s_addc_u32 s5, s19, s7
	s_waitcnt lgkmcnt(0)
	v_cmp_gt_u64_e32 vcc_lo, s[0:1], v[3:4]
	v_cmp_le_u64_e64 s0, s[0:1], v[3:4]
	s_and_saveexec_b32 s1, s0
	s_xor_b32 s0, exec_lo, s1
; %bb.10:
	v_mul_u32_u24_e32 v5, 0x4e, v37
	s_mov_b32 s14, 0
                                        ; implicit-def: $vgpr37
	v_sub_nc_u32_e32 v20, v0, v5
                                        ; implicit-def: $vgpr0
                                        ; implicit-def: $vgpr5_vgpr6
	v_add_nc_u32_e32 v22, 0x4e, v20
	v_add_nc_u32_e32 v21, 0x9c, v20
; %bb.11:
	s_or_saveexec_b32 s1, s0
	v_mov_b32_e32 v19, s14
	v_mov_b32_e32 v29, s14
                                        ; implicit-def: $vgpr36
                                        ; implicit-def: $vgpr35
                                        ; implicit-def: $vgpr30
                                        ; implicit-def: $vgpr28
                                        ; implicit-def: $vgpr25
                                        ; implicit-def: $vgpr24
                                        ; implicit-def: $vgpr17
                                        ; implicit-def: $vgpr16
                                        ; implicit-def: $vgpr13
                                        ; implicit-def: $vgpr12
                                        ; implicit-def: $vgpr9
                                        ; implicit-def: $vgpr7
                                        ; implicit-def: $vgpr34
                                        ; implicit-def: $vgpr33
                                        ; implicit-def: $vgpr32
                                        ; implicit-def: $vgpr31
                                        ; implicit-def: $vgpr27
                                        ; implicit-def: $vgpr26
                                        ; implicit-def: $vgpr23
                                        ; implicit-def: $vgpr18
                                        ; implicit-def: $vgpr15
                                        ; implicit-def: $vgpr14
                                        ; implicit-def: $vgpr10
                                        ; implicit-def: $vgpr8
	s_xor_b32 exec_lo, exec_lo, s1
	s_cbranch_execz .LBB0_13
; %bb.12:
	s_add_u32 s6, s16, s6
	s_addc_u32 s7, s17, s7
	v_mul_u32_u24_e32 v7, 0x4e, v37
	s_load_dwordx2 s[6:7], s[6:7], 0x0
	v_lshlrev_b64 v[5:6], 2, v[5:6]
	v_sub_nc_u32_e32 v20, v0, v7
	v_mad_u64_u32 v[7:8], null, s20, v20, 0
	v_add_nc_u32_e32 v22, 0x4e, v20
	v_add_nc_u32_e32 v21, 0x9c, v20
	;; [unrolled: 1-line block ×5, first 2 shown]
	v_mad_u64_u32 v[9:10], null, s20, v22, 0
	v_mov_b32_e32 v0, v8
	v_mad_u64_u32 v[12:13], null, s20, v21, 0
	s_waitcnt lgkmcnt(0)
	v_mul_lo_u32 v8, s7, v3
	v_mul_lo_u32 v25, s6, v4
	v_mad_u64_u32 v[16:17], null, s6, v3, 0
	v_mad_u64_u32 v[14:15], null, s20, v27, 0
	;; [unrolled: 1-line block ×3, first 2 shown]
	v_mov_b32_e32 v0, v10
	v_mov_b32_e32 v10, v13
	v_add3_u32 v17, v17, v25, v8
	v_mad_u64_u32 v[23:24], null, s20, v28, 0
	v_mad_u64_u32 v[25:26], null, s21, v22, v[0:1]
	v_mov_b32_e32 v13, v15
	v_lshlrev_b64 v[15:16], 2, v[16:17]
	v_mov_b32_e32 v8, v18
	v_mad_u64_u32 v[18:19], null, s21, v21, v[10:11]
	v_mad_u64_u32 v[26:27], null, s21, v27, v[13:14]
	v_mov_b32_e32 v10, v25
	v_add_co_u32 v0, s0, s8, v15
	v_add_co_ci_u32_e64 v13, s0, s9, v16, s0
	v_lshlrev_b64 v[29:30], 2, v[7:8]
	v_lshlrev_b64 v[7:8], 2, v[9:10]
	v_add_co_u32 v42, s0, v0, v5
	v_add_co_ci_u32_e64 v43, s0, v13, v6, s0
	v_mov_b32_e32 v13, v18
	v_mov_b32_e32 v0, v24
	v_add_nc_u32_e32 v18, 0x186, v20
	v_add_co_u32 v5, s0, v42, v7
	v_add_co_ci_u32_e64 v6, s0, v43, v8, s0
	v_lshlrev_b64 v[7:8], 2, v[12:13]
	v_mad_u64_u32 v[9:10], null, s21, v28, v[0:1]
	v_mad_u64_u32 v[12:13], null, s20, v18, 0
	v_add_nc_u32_e32 v25, 0x1d4, v20
	v_mov_b32_e32 v15, v26
	v_add_nc_u32_e32 v26, 0x222, v20
	v_add_co_u32 v7, s0, v42, v7
	v_mov_b32_e32 v24, v9
	v_mov_b32_e32 v0, v13
	v_mad_u64_u32 v[9:10], null, s20, v25, 0
	v_mad_u64_u32 v[16:17], null, s20, v26, 0
	;; [unrolled: 1-line block ×3, first 2 shown]
	v_lshlrev_b64 v[14:15], 2, v[14:15]
	v_lshlrev_b64 v[23:24], 2, v[23:24]
	v_mov_b32_e32 v0, v10
	v_add_co_ci_u32_e64 v8, s0, v43, v8, s0
	v_mov_b32_e32 v10, v17
	v_mov_b32_e32 v13, v18
	v_mad_u64_u32 v[17:18], null, s21, v25, v[0:1]
	v_add_co_u32 v14, s0, v42, v14
	v_mad_u64_u32 v[18:19], null, s21, v26, v[10:11]
	v_add_co_ci_u32_e64 v15, s0, v43, v15, s0
	v_mov_b32_e32 v10, v17
	v_add_co_u32 v25, s0, v42, v23
	v_add_nc_u32_e32 v23, 0x270, v20
	v_lshlrev_b64 v[12:13], 2, v[12:13]
	v_mov_b32_e32 v17, v18
	v_lshlrev_b64 v[9:10], 2, v[9:10]
	v_add_co_ci_u32_e64 v26, s0, v43, v24, s0
	v_mad_u64_u32 v[18:19], null, s20, v23, 0
	v_add_co_u32 v12, s0, v42, v12
	v_lshlrev_b64 v[16:17], 2, v[16:17]
	v_add_co_ci_u32_e64 v13, s0, v43, v13, s0
	v_add_nc_u32_e32 v27, 0x2be, v20
	v_add_co_u32 v9, s0, v42, v9
	v_add_co_ci_u32_e64 v10, s0, v43, v10, s0
	v_add_co_u32 v36, s0, v42, v16
	v_mov_b32_e32 v0, v19
	v_add_nc_u32_e32 v28, 0x30c, v20
	v_mad_u64_u32 v[31:32], null, s20, v27, 0
	v_add_co_ci_u32_e64 v37, s0, v43, v17, s0
	v_add_nc_u32_e32 v17, 0x35a, v20
	v_mad_u64_u32 v[23:24], null, s21, v23, v[0:1]
	v_mad_u64_u32 v[33:34], null, s20, v28, 0
	v_mad_u64_u32 v[38:39], null, s20, v17, 0
	v_mov_b32_e32 v0, v32
	v_mad_u64_u32 v[40:41], null, s20, v44, 0
	v_mov_b32_e32 v19, v23
	v_mov_b32_e32 v16, v34
	v_mad_u64_u32 v[23:24], null, s21, v27, v[0:1]
	v_mov_b32_e32 v0, v39
	v_mad_u64_u32 v[27:28], null, s21, v28, v[16:17]
	s_clause 0x6
	global_load_dword v35, v[5:6], off
	global_load_dword v28, v[7:8], off
	;; [unrolled: 1-line block ×7, first 2 shown]
	v_mad_u64_u32 v[9:10], null, s21, v17, v[0:1]
	v_mov_b32_e32 v0, v41
	v_mov_b32_e32 v32, v23
	v_lshlrev_b64 v[5:6], 2, v[18:19]
	v_mov_b32_e32 v34, v27
	v_mad_u64_u32 v[17:18], null, s21, v44, v[0:1]
	v_lshlrev_b64 v[13:14], 2, v[31:32]
	v_add_co_u32 v5, s0, v42, v5
	v_mov_b32_e32 v39, v9
	v_add_co_ci_u32_e64 v6, s0, v43, v6, s0
	v_lshlrev_b64 v[18:19], 2, v[33:34]
	v_add_co_u32 v9, s0, v42, v13
	v_mov_b32_e32 v41, v17
	v_add_co_ci_u32_e64 v10, s0, v43, v14, s0
	v_lshlrev_b64 v[13:14], 2, v[38:39]
	v_add_co_u32 v25, s0, v42, v18
	v_lshlrev_b64 v[17:18], 2, v[40:41]
	v_add_co_ci_u32_e64 v26, s0, v43, v19, s0
	v_add_co_u32 v31, s0, v42, v13
	v_add_co_ci_u32_e64 v32, s0, v43, v14, s0
	v_add_co_u32 v33, s0, v42, v17
	v_add_co_ci_u32_e64 v34, s0, v43, v18, s0
	s_clause 0x4
	global_load_dword v14, v[5:6], off
	global_load_dword v18, v[9:10], off
	;; [unrolled: 1-line block ×5, first 2 shown]
	v_add_co_u32 v5, s0, v42, v29
	v_add_co_ci_u32_e64 v6, s0, v43, v30, s0
	v_mov_b32_e32 v19, v20
	global_load_dword v29, v[5:6], off
	s_waitcnt vmcnt(12)
	v_lshrrev_b32_e32 v36, 16, v35
	s_waitcnt vmcnt(11)
	v_lshrrev_b32_e32 v30, 16, v28
	;; [unrolled: 2-line block ×12, first 2 shown]
.LBB0_13:
	s_or_b32 exec_lo, exec_lo, s1
	s_waitcnt vmcnt(0)
	v_add_f16_e32 v0, v35, v29
	v_add_f16_sdwa v5, v36, v29 dst_sel:DWORD dst_unused:UNUSED_PAD src0_sel:DWORD src1_sel:WORD_1
	v_and_b32_e32 v6, 1, v11
	v_add_f16_e32 v11, v35, v33
	v_sub_f16_e32 v35, v35, v33
	v_add_f16_e32 v0, v28, v0
	v_add_f16_e32 v5, v30, v5
	v_cmp_eq_u32_e64 s0, 1, v6
	v_add_f16_e32 v37, v36, v34
	v_mul_f16_e32 v41, 0xba95, v35
	v_add_f16_e32 v0, v24, v0
	v_add_f16_e32 v38, v25, v5
	v_sub_f16_e32 v36, v36, v34
	v_mul_f16_e32 v40, 0x388b, v11
	v_mul_f16_e32 v42, 0x2fb7, v11
	v_add_f16_e32 v0, v16, v0
	v_add_f16_e32 v6, v17, v38
	v_mul_f16_e32 v38, 0x3b15, v11
	v_mul_f16_e32 v43, 0xbbf1, v35
	v_fmamk_f16 v48, v37, 0x388b, v41
	v_add_f16_e32 v0, v12, v0
	v_add_f16_e32 v6, v13, v6
	;; [unrolled: 1-line block ×3, first 2 shown]
	v_mul_f16_e32 v39, 0xb770, v35
	v_mul_f16_e32 v44, 0xb5ac, v11
	v_add_f16_e32 v0, v7, v0
	v_add_f16_e32 v6, v9, v6
	v_fmamk_f16 v45, v36, 0x3770, v38
	v_fmamk_f16 v47, v36, 0x3a95, v40
	v_fmac_f16_e32 v40, 0xba95, v36
	v_add_f16_e32 v0, v8, v0
	v_add_f16_e32 v6, v10, v6
	v_fma_f16 v41, v37, 0x388b, -v41
	v_fmamk_f16 v49, v36, 0x3bf1, v42
	v_fmamk_f16 v50, v37, 0x2fb7, v43
	v_add_f16_e32 v0, v14, v0
	v_add_f16_e32 v6, v15, v6
	v_mul_f16_e32 v51, 0xb9fd, v11
	v_mul_f16_e32 v52, 0xb94e, v35
	;; [unrolled: 1-line block ×3, first 2 shown]
	v_add_f16_e32 v0, v18, v0
	v_add_f16_e32 v6, v23, v6
	v_sub_f16_e32 v58, v30, v32
	v_mul_f16_e32 v59, 0x388b, v56
	v_sub_f16_e32 v28, v28, v31
	v_add_f16_e32 v0, v26, v0
	v_add_f16_e32 v6, v27, v6
	v_fmamk_f16 v46, v37, 0x3b15, v39
	v_fmac_f16_e32 v38, 0xb770, v36
	v_fma_f16 v39, v37, 0x3b15, -v39
	v_add_f16_e32 v0, v31, v0
	v_add_f16_e32 v6, v32, v6
	v_fmac_f16_e32 v42, 0xbbf1, v36
	v_fma_f16 v43, v37, 0x2fb7, -v43
	v_add_f16_e32 v45, v45, v29
	v_add_f16_e32 v0, v33, v0
	v_add_f16_sdwa v6, v34, v6 dst_sel:WORD_1 dst_unused:UNUSED_PAD src0_sel:DWORD src1_sel:DWORD
	v_add_f16_sdwa v33, v48, v29 dst_sel:DWORD dst_unused:UNUSED_PAD src0_sel:DWORD src1_sel:WORD_1
	v_mul_f16_e32 v48, 0xbb7b, v35
	v_mul_f16_e32 v35, 0xb3a8, v35
	v_add_f16_e32 v34, v40, v29
	v_add_f16_sdwa v40, v41, v29 dst_sel:DWORD dst_unused:UNUSED_PAD src0_sel:DWORD src1_sel:WORD_1
	v_add_f16_e32 v41, v49, v29
	v_or_b32_sdwa v0, v6, v0 dst_sel:DWORD dst_unused:UNUSED_PAD src0_sel:DWORD src1_sel:WORD_0
	v_fmamk_f16 v6, v36, 0x3b7b, v44
	v_add_f16_sdwa v49, v50, v29 dst_sel:DWORD dst_unused:UNUSED_PAD src0_sel:DWORD src1_sel:WORD_1
	v_fmamk_f16 v50, v37, 0xb5ac, v48
	v_fmac_f16_e32 v44, 0xbb7b, v36
	v_fma_f16 v48, v37, 0xb5ac, -v48
	v_fmamk_f16 v53, v36, 0x394e, v51
	v_fmamk_f16 v54, v37, 0xb9fd, v52
	v_fmac_f16_e32 v51, 0xb94e, v36
	v_fma_f16 v52, v37, 0xb9fd, -v52
	v_fmamk_f16 v55, v36, 0x33a8, v11
	v_fmamk_f16 v57, v37, 0xbbc4, v35
	v_fmac_f16_e32 v11, 0xb3a8, v36
	v_fma_f16 v31, v37, 0xbbc4, -v35
	v_add_f16_e32 v30, v30, v32
	v_fmamk_f16 v32, v58, 0x3a95, v59
	v_mul_f16_e32 v35, 0xba95, v28
	v_add_f16_sdwa v46, v46, v29 dst_sel:DWORD dst_unused:UNUSED_PAD src0_sel:DWORD src1_sel:WORD_1
	v_add_f16_e32 v38, v38, v29
	v_add_f16_sdwa v39, v39, v29 dst_sel:DWORD dst_unused:UNUSED_PAD src0_sel:DWORD src1_sel:WORD_1
	v_add_f16_e32 v47, v47, v29
	v_add_f16_e32 v42, v42, v29
	v_add_f16_sdwa v43, v43, v29 dst_sel:DWORD dst_unused:UNUSED_PAD src0_sel:DWORD src1_sel:WORD_1
	v_add_f16_e32 v6, v6, v29
	v_add_f16_sdwa v50, v50, v29 dst_sel:DWORD dst_unused:UNUSED_PAD src0_sel:DWORD src1_sel:WORD_1
	;; [unrolled: 2-line block ×7, first 2 shown]
	v_add_f16_e32 v31, v32, v45
	v_fmamk_f16 v32, v30, 0x388b, v35
	v_mul_f16_e32 v37, 0xb5ac, v56
	v_fma_f16 v35, v30, 0x388b, -v35
	v_mul_f16_e32 v45, 0xbb7b, v28
	v_mul_f16_e32 v57, 0xbbc4, v56
	v_add_f16_e32 v32, v32, v46
	v_fmamk_f16 v46, v58, 0x3b7b, v37
	v_add_f16_e32 v35, v35, v39
	v_fmamk_f16 v39, v30, 0xb5ac, v45
	v_fmac_f16_e32 v37, 0xbb7b, v58
	v_fma_f16 v45, v30, 0xb5ac, -v45
	v_fmac_f16_e32 v59, 0xba95, v58
	v_add_f16_e32 v46, v46, v47
	v_add_f16_e32 v33, v39, v33
	v_fmamk_f16 v39, v58, 0x33a8, v57
	v_mul_f16_e32 v47, 0xb3a8, v28
	v_add_f16_e32 v34, v37, v34
	v_add_f16_e32 v37, v45, v40
	v_mul_f16_e32 v40, 0xb9fd, v56
	v_add_f16_e32 v38, v59, v38
	v_add_f16_e32 v39, v39, v41
	v_fmamk_f16 v41, v30, 0xbbc4, v47
	v_fma_f16 v45, v30, 0xbbc4, -v47
	v_fmamk_f16 v47, v58, 0xb94e, v40
	v_mul_f16_e32 v59, 0x394e, v28
	v_fmac_f16_e32 v40, 0x394e, v58
	v_add_f16_e32 v41, v41, v49
	v_add_f16_e32 v43, v45, v43
	;; [unrolled: 1-line block ×3, first 2 shown]
	v_fmamk_f16 v45, v30, 0xb9fd, v59
	v_mul_f16_e32 v47, 0x2fb7, v56
	v_mul_f16_e32 v49, 0x3bf1, v28
	;; [unrolled: 1-line block ×3, first 2 shown]
	v_add_f16_e32 v40, v40, v44
	v_add_f16_e32 v45, v45, v50
	v_fmamk_f16 v50, v58, 0xbbf1, v47
	v_fmac_f16_e32 v47, 0x3bf1, v58
	v_fmamk_f16 v44, v30, 0x2fb7, v49
	v_fma_f16 v49, v30, 0x2fb7, -v49
	v_mul_f16_e32 v28, 0x3770, v28
	v_add_f16_e32 v50, v50, v53
	v_fmamk_f16 v53, v58, 0xb770, v56
	v_add_f16_e32 v47, v47, v51
	v_add_f16_e32 v51, v24, v26
	;; [unrolled: 1-line block ×5, first 2 shown]
	v_sub_f16_e32 v54, v25, v27
	v_mul_f16_e32 v55, 0x2fb7, v51
	v_sub_f16_e32 v24, v24, v26
	v_fmac_f16_e32 v57, 0xb3a8, v58
	v_fmamk_f16 v53, v30, 0x3b15, v28
	v_fma_f16 v26, v30, 0x3b15, -v28
	v_add_f16_e32 v25, v25, v27
	v_fmamk_f16 v27, v54, 0x3bf1, v55
	v_mul_f16_e32 v28, 0xbbf1, v24
	v_add_f16_e32 v42, v57, v42
	v_fma_f16 v57, v30, 0xb9fd, -v59
	v_add_f16_e32 v30, v53, v36
	v_add_f16_e32 v26, v26, v29
	;; [unrolled: 1-line block ×3, first 2 shown]
	v_fmamk_f16 v29, v25, 0x2fb7, v28
	v_mul_f16_e32 v31, 0xbbc4, v51
	v_fma_f16 v28, v25, 0x2fb7, -v28
	v_mul_f16_e32 v36, 0xb3a8, v24
	v_mul_f16_e32 v53, 0xb5ac, v51
	v_add_f16_e32 v29, v29, v32
	v_fmamk_f16 v32, v54, 0x33a8, v31
	v_add_f16_e32 v28, v28, v35
	v_fmamk_f16 v35, v25, 0xbbc4, v36
	v_fmac_f16_e32 v31, 0xb3a8, v54
	v_fma_f16 v36, v25, 0xbbc4, -v36
	v_fmac_f16_e32 v55, 0xbbf1, v54
	v_add_f16_e32 v32, v32, v46
	v_add_f16_e32 v33, v35, v33
	v_fmamk_f16 v35, v54, 0xbb7b, v53
	v_mul_f16_e32 v46, 0x3b7b, v24
	v_add_f16_e32 v31, v31, v34
	v_add_f16_e32 v34, v36, v37
	v_mul_f16_e32 v36, 0x3b15, v51
	v_add_f16_e32 v38, v55, v38
	v_add_f16_e32 v35, v35, v39
	v_fmamk_f16 v37, v25, 0xb5ac, v46
	v_fmac_f16_e32 v53, 0x3b7b, v54
	v_fma_f16 v39, v25, 0xb5ac, -v46
	v_fmamk_f16 v46, v54, 0xb770, v36
	v_mul_f16_e32 v55, 0x3770, v24
	v_add_f16_e32 v37, v37, v41
	v_add_f16_e32 v41, v53, v42
	;; [unrolled: 1-line block ×4, first 2 shown]
	v_fmamk_f16 v42, v25, 0x3b15, v55
	v_mul_f16_e32 v43, 0x388b, v51
	v_fmac_f16_e32 v36, 0x3770, v54
	v_mul_f16_e32 v46, 0xba95, v24
	v_mul_f16_e32 v51, 0xb9fd, v51
	v_add_f16_e32 v42, v42, v45
	v_fmamk_f16 v45, v54, 0x3a95, v43
	v_add_f16_e32 v36, v36, v40
	v_fmamk_f16 v40, v25, 0x388b, v46
	v_fmac_f16_e32 v43, 0xba95, v54
	v_mul_f16_e32 v24, 0xb94e, v24
	v_add_f16_e32 v45, v45, v50
	v_sub_f16_e32 v50, v17, v23
	v_add_f16_e32 v40, v40, v44
	v_fma_f16 v44, v25, 0x388b, -v46
	v_fmamk_f16 v46, v54, 0x394e, v51
	v_add_f16_e32 v43, v43, v47
	v_add_f16_e32 v47, v16, v18
	v_sub_f16_e32 v16, v16, v18
	v_add_f16_e32 v44, v44, v49
	v_add_f16_e32 v46, v46, v52
	v_fmamk_f16 v49, v25, 0xb9fd, v24
	v_mul_f16_e32 v52, 0xb5ac, v47
	v_fma_f16 v18, v25, 0xb9fd, -v24
	v_add_f16_e32 v17, v17, v23
	v_mul_f16_e32 v24, 0xbb7b, v16
	v_fma_f16 v53, v25, 0x3b15, -v55
	v_fmamk_f16 v23, v50, 0x3b7b, v52
	v_add_f16_e32 v25, v49, v30
	v_add_f16_e32 v18, v18, v26
	v_fmamk_f16 v26, v17, 0xb5ac, v24
	v_fma_f16 v24, v17, 0xb5ac, -v24
	v_add_f16_e32 v23, v23, v27
	v_mul_f16_e32 v27, 0xb9fd, v47
	v_mul_f16_e32 v30, 0x394e, v16
	v_fmac_f16_e32 v56, 0x3770, v58
	v_add_f16_e32 v26, v26, v29
	v_add_f16_e32 v24, v24, v28
	v_fmamk_f16 v29, v50, 0xb94e, v27
	v_fmamk_f16 v28, v17, 0xb9fd, v30
	v_mul_f16_e32 v49, 0x3b15, v47
	v_fmac_f16_e32 v27, 0x394e, v50
	v_add_f16_e32 v11, v56, v11
	v_fmac_f16_e32 v51, 0xb94e, v54
	v_add_f16_e32 v29, v29, v32
	v_fma_f16 v30, v17, 0xb9fd, -v30
	v_add_f16_e32 v28, v28, v33
	v_fmamk_f16 v32, v50, 0xb770, v49
	v_mul_f16_e32 v33, 0x3770, v16
	v_add_f16_e32 v27, v27, v31
	v_mul_f16_e32 v31, 0x2fb7, v47
	v_add_f16_e32 v11, v51, v11
	v_add_f16_e32 v30, v30, v34
	;; [unrolled: 1-line block ×3, first 2 shown]
	v_fmamk_f16 v34, v17, 0x3b15, v33
	v_fmac_f16_e32 v49, 0x3770, v50
	v_fma_f16 v33, v17, 0x3b15, -v33
	v_fmamk_f16 v35, v50, 0x3bf1, v31
	v_mul_f16_e32 v51, 0xbbf1, v16
	v_add_f16_e32 v34, v34, v37
	v_add_f16_e32 v37, v49, v41
	;; [unrolled: 1-line block ×4, first 2 shown]
	v_fmamk_f16 v35, v17, 0x2fb7, v51
	v_mul_f16_e32 v39, 0xbbc4, v47
	v_fmac_f16_e32 v31, 0xbbf1, v50
	v_mul_f16_e32 v41, 0x33a8, v16
	v_mul_f16_e32 v47, 0x388b, v47
	v_add_f16_e32 v35, v35, v42
	v_fmamk_f16 v42, v50, 0xb3a8, v39
	v_add_f16_e32 v31, v31, v36
	v_fmamk_f16 v36, v17, 0xbbc4, v41
	v_fmac_f16_e32 v39, 0x33a8, v50
	v_mul_f16_e32 v16, 0x3a95, v16
	v_add_f16_e32 v42, v42, v45
	v_sub_f16_e32 v45, v13, v15
	v_add_f16_e32 v36, v36, v40
	v_fma_f16 v40, v17, 0xbbc4, -v41
	v_fmamk_f16 v41, v50, 0xba95, v47
	v_add_f16_e32 v39, v39, v43
	v_add_f16_e32 v43, v12, v14
	v_sub_f16_e32 v12, v12, v14
	v_add_f16_e32 v40, v40, v44
	v_add_f16_e32 v41, v41, v46
	v_fmamk_f16 v44, v17, 0x388b, v16
	v_mul_f16_e32 v46, 0xb9fd, v43
	v_fma_f16 v14, v17, 0x388b, -v16
	v_add_f16_e32 v13, v13, v15
	v_mul_f16_e32 v16, 0xb94e, v12
	v_fma_f16 v49, v17, 0x2fb7, -v51
	v_fmamk_f16 v15, v45, 0x394e, v46
	v_add_f16_e32 v17, v44, v25
	v_add_f16_e32 v14, v14, v18
	v_fmamk_f16 v18, v13, 0xb9fd, v16
	v_fma_f16 v16, v13, 0xb9fd, -v16
	v_add_f16_e32 v15, v15, v23
	v_mul_f16_e32 v23, 0x2fb7, v43
	v_mul_f16_e32 v25, 0x3bf1, v12
	v_fmac_f16_e32 v52, 0xbb7b, v50
	v_add_f16_e32 v18, v18, v26
	v_add_f16_e32 v16, v16, v24
	v_fmamk_f16 v26, v45, 0xbbf1, v23
	v_fmamk_f16 v24, v13, 0x2fb7, v25
	v_mul_f16_e32 v44, 0x388b, v43
	v_fmac_f16_e32 v23, 0x3bf1, v45
	v_add_f16_e32 v38, v52, v38
	v_fmac_f16_e32 v46, 0xb94e, v45
	v_add_f16_e32 v26, v26, v29
	v_fma_f16 v25, v13, 0x2fb7, -v25
	v_add_f16_e32 v24, v24, v28
	v_fmamk_f16 v28, v45, 0x3a95, v44
	v_mul_f16_e32 v29, 0xba95, v12
	v_add_f16_e32 v23, v23, v27
	v_mul_f16_e32 v27, 0xbbc4, v43
	v_add_f16_e32 v38, v46, v38
	v_add_f16_e32 v25, v25, v30
	v_add_f16_e32 v30, v28, v32
	v_fmamk_f16 v28, v13, 0x388b, v29
	v_fma_f16 v29, v13, 0x388b, -v29
	v_fmamk_f16 v32, v45, 0xb3a8, v27
	v_mul_f16_e32 v46, 0x33a8, v12
	v_fmac_f16_e32 v27, 0x33a8, v45
	v_add_f16_e32 v34, v28, v34
	v_add_f16_e32 v29, v29, v33
	;; [unrolled: 1-line block ×3, first 2 shown]
	v_fmamk_f16 v28, v13, 0xbbc4, v46
	v_mul_f16_e32 v32, 0x3b15, v43
	v_mul_f16_e32 v33, 0x3770, v12
	v_add_f16_e32 v31, v27, v31
	v_mul_f16_e32 v43, 0xb5ac, v43
	v_add_f16_e32 v35, v28, v35
	v_fmamk_f16 v28, v45, 0xb770, v32
	v_fmamk_f16 v27, v13, 0x3b15, v33
	v_fmac_f16_e32 v32, 0x3770, v45
	v_mul_f16_e32 v12, 0xbb7b, v12
	v_fmac_f16_e32 v44, 0xba95, v45
	v_add_f16_e32 v42, v28, v42
	v_add_f16_e32 v36, v27, v36
	v_fma_f16 v27, v13, 0x3b15, -v33
	v_fmamk_f16 v28, v45, 0x3b7b, v43
	v_add_f16_e32 v33, v7, v8
	v_add_f16_e32 v32, v32, v39
	v_sub_f16_e32 v7, v7, v8
	v_add_f16_e32 v39, v27, v40
	v_add_f16_e32 v40, v28, v41
	v_sub_f16_e32 v41, v9, v10
	v_mul_f16_e32 v28, 0xbbc4, v33
	v_fmamk_f16 v27, v13, 0xb5ac, v12
	v_fma_f16 v8, v13, 0xb5ac, -v12
	v_add_f16_e32 v9, v9, v10
	v_mul_f16_e32 v12, 0xb3a8, v7
	v_fmamk_f16 v10, v41, 0x33a8, v28
	v_add_f16_e32 v37, v44, v37
	v_fma_f16 v44, v13, 0xbbc4, -v46
	v_add_f16_e32 v13, v27, v17
	v_add_f16_e32 v8, v8, v14
	;; [unrolled: 1-line block ×3, first 2 shown]
	v_fmamk_f16 v14, v9, 0xbbc4, v12
	v_mul_f16_e32 v15, 0x3b15, v33
	v_fmac_f16_e32 v28, 0xb3a8, v41
	v_fma_f16 v12, v9, 0xbbc4, -v12
	v_mul_f16_e32 v17, 0x3770, v7
	v_add_f16_e32 v48, v57, v48
	v_add_f16_e32 v14, v14, v18
	v_fmamk_f16 v18, v41, 0xb770, v15
	v_add_f16_e32 v27, v28, v38
	v_add_f16_e32 v28, v12, v16
	v_fmamk_f16 v12, v9, 0x3b15, v17
	v_mul_f16_e32 v16, 0xb9fd, v33
	v_fmac_f16_e32 v15, 0x3770, v41
	v_add_f16_e32 v48, v53, v48
	v_add_f16_e32 v18, v18, v26
	v_fma_f16 v17, v9, 0x3b15, -v17
	v_add_f16_e32 v12, v12, v24
	v_fmamk_f16 v24, v41, 0x394e, v16
	v_mul_f16_e32 v26, 0xb94e, v7
	v_add_f16_e32 v15, v15, v23
	v_mul_f16_e32 v23, 0x388b, v33
	v_add_f16_e32 v48, v49, v48
	v_add_f16_e32 v17, v17, v25
	;; [unrolled: 1-line block ×3, first 2 shown]
	v_fmamk_f16 v25, v9, 0xb9fd, v26
	v_fmac_f16_e32 v16, 0xb94e, v41
	v_fma_f16 v26, v9, 0xb9fd, -v26
	v_fmamk_f16 v30, v41, 0xba95, v23
	v_mul_f16_e32 v38, 0x3a95, v7
	v_add_f16_e32 v44, v44, v48
	v_add_f16_e32 v25, v25, v34
	;; [unrolled: 1-line block ×5, first 2 shown]
	v_fmamk_f16 v29, v9, 0x388b, v38
	v_mul_f16_e32 v30, 0xb5ac, v33
	v_fmac_f16_e32 v23, 0x3a95, v41
	v_fma_f16 v34, v9, 0x388b, -v38
	v_mul_f16_e32 v37, 0xbb7b, v7
	v_fmac_f16_e32 v47, 0x3a95, v50
	v_cndmask_b32_e64 v5, 0, 0x3f6, s0
	v_add_f16_e32 v29, v29, v35
	v_fmamk_f16 v35, v41, 0x3b7b, v30
	v_add_f16_e32 v23, v23, v31
	v_add_f16_e32 v31, v34, v44
	v_fmamk_f16 v34, v9, 0xb5ac, v37
	v_mul_f16_e32 v33, 0x2fb7, v33
	v_fmac_f16_e32 v30, 0xbb7b, v41
	v_fma_f16 v37, v9, 0xb5ac, -v37
	v_mul_f16_e32 v7, 0x3bf1, v7
	v_add_f16_e32 v11, v47, v11
	v_fmac_f16_e32 v43, 0xbb7b, v45
	v_add_f16_e32 v34, v34, v36
	v_fmamk_f16 v36, v41, 0xbbf1, v33
	v_add_f16_e32 v30, v30, v32
	v_add_f16_e32 v32, v37, v39
	v_lshl_add_u32 v37, v5, 2, 0
	v_fmamk_f16 v38, v9, 0x2fb7, v7
	v_add_f16_e32 v11, v43, v11
	v_fmac_f16_e32 v33, 0x3bf1, v41
	v_fma_f16 v7, v9, 0x2fb7, -v7
	v_add_f16_e32 v36, v36, v40
	v_mad_u32_u24 v9, v20, 52, v37
	v_add_f16_e32 v13, v38, v13
	v_add_f16_e32 v35, v35, v42
	v_pack_b32_f16 v12, v18, v12
	v_pack_b32_f16 v10, v10, v14
	v_add_f16_e32 v11, v33, v11
	v_add_f16_e32 v7, v7, v8
	s_load_dwordx2 s[4:5], s[4:5], 0x0
	ds_write_b32 v9, v0
	ds_write2_b32 v9, v10, v12 offset0:1 offset1:2
	v_pack_b32_f16 v0, v6, v29
	v_pack_b32_f16 v6, v24, v25
	;; [unrolled: 1-line block ×4, first 2 shown]
	v_mad_i32_i24 v23, 0xffffffd0, v20, v9
	v_pack_b32_f16 v10, v35, v34
	v_pack_b32_f16 v12, v30, v32
	;; [unrolled: 1-line block ×6, first 2 shown]
	ds_write2_b32 v9, v6, v0 offset0:3 offset1:4
	ds_write2_b32 v9, v10, v8 offset0:5 offset1:6
	;; [unrolled: 1-line block ×5, first 2 shown]
	v_add_nc_u32_e32 v7, 0x400, v23
	v_add_nc_u32_e32 v6, 0x600, v23
	v_add_nc_u32_e32 v8, 0x800, v23
	v_add_nc_u32_e32 v13, 0xc00, v23
	v_lshl_add_u32 v0, v20, 2, v37
	v_lshl_add_u32 v24, v22, 2, v37
	s_waitcnt lgkmcnt(0)
	s_barrier
	buffer_gl0_inv
	ds_read2_b32 v[9:10], v23 offset0:169 offset1:247
	ds_read2_b32 v[11:12], v7 offset0:82 offset1:160
	ds_read2_b32 v[17:18], v6 offset0:123 offset1:201
	ds_read2_b32 v[15:16], v8 offset0:164 offset1:242
	ds_read2_b32 v[13:14], v13 offset0:77 offset1:155
	ds_read_b32 v36, v0
	ds_read_b32 v35, v24
	v_cmp_gt_u32_e64 s0, 13, v20
	v_lshlrev_b32_e32 v25, 2, v21
	v_lshlrev_b32_e32 v26, 2, v5
                                        ; implicit-def: $vgpr30
                                        ; implicit-def: $vgpr29
                                        ; implicit-def: $vgpr33
                                        ; implicit-def: $vgpr6
                                        ; implicit-def: $vgpr32
                                        ; implicit-def: $vgpr34
                                        ; implicit-def: $vgpr8
                                        ; implicit-def: $vgpr31
	s_and_saveexec_b32 s1, s0
	s_cbranch_execz .LBB0_15
; %bb.14:
	v_add3_u32 v5, 0, v25, v26
	v_add_nc_u32_e32 v6, 0xa00, v23
	ds_read2_b32 v[7:8], v7 offset0:69 offset1:238
	ds_read_b32 v27, v5
	ds_read2_b32 v[5:6], v6 offset0:23 offset1:192
	ds_read_b32 v29, v23 offset:4004
	s_waitcnt lgkmcnt(3)
	v_lshrrev_b32_e32 v31, 16, v7
	v_lshrrev_b32_e32 v34, 16, v8
	s_waitcnt lgkmcnt(2)
	v_lshrrev_b32_e32 v28, 16, v27
	s_waitcnt lgkmcnt(1)
	v_lshrrev_b32_e32 v32, 16, v5
	v_lshrrev_b32_e32 v33, 16, v6
	s_waitcnt lgkmcnt(0)
	v_lshrrev_b32_e32 v30, 16, v29
.LBB0_15:
	s_or_b32 exec_lo, exec_lo, s1
	v_and_b32_e32 v37, 0xff, v20
	v_and_b32_e32 v38, 0xff, v22
	s_waitcnt lgkmcnt(5)
	v_lshrrev_b32_e32 v57, 16, v11
	s_waitcnt lgkmcnt(4)
	v_lshrrev_b32_e32 v58, 16, v17
	;; [unrolled: 2-line block ×3, first 2 shown]
	v_mul_lo_u16 v37, 0x4f, v37
	v_mul_lo_u16 v38, 0x4f, v38
	s_waitcnt lgkmcnt(2)
	v_lshrrev_b32_e32 v60, 16, v13
	v_lshrrev_b32_e32 v55, 16, v14
	;; [unrolled: 1-line block ×3, first 2 shown]
	v_lshrrev_b16 v46, 10, v37
	v_lshrrev_b16 v47, 10, v38
	v_mov_b32_e32 v37, 5
	v_lshrrev_b32_e32 v63, 16, v18
	v_lshrrev_b32_e32 v61, 16, v10
	v_mul_lo_u16 v39, v46, 13
	v_mul_lo_u16 v38, v47, 13
	v_and_b32_e32 v46, 0xffff, v46
	v_and_b32_e32 v47, 0xffff, v47
	v_lshrrev_b32_e32 v62, 16, v12
	v_sub_nc_u16 v48, v20, v39
	v_sub_nc_u16 v49, v22, v38
	v_mad_u32_u24 v46, 0x138, v46, 0
	v_mad_u32_u24 v47, 0x138, v47, 0
	v_lshrrev_b32_e32 v54, 16, v16
	v_mul_u32_u24_sdwa v39, v48, v37 dst_sel:DWORD dst_unused:UNUSED_PAD src0_sel:BYTE_0 src1_sel:DWORD
	v_mul_u32_u24_sdwa v42, v49, v37 dst_sel:DWORD dst_unused:UNUSED_PAD src0_sel:BYTE_0 src1_sel:DWORD
	s_waitcnt lgkmcnt(1)
	v_lshrrev_b32_e32 v52, 16, v36
	s_waitcnt lgkmcnt(0)
	v_lshrrev_b32_e32 v53, 16, v35
	v_lshlrev_b32_e32 v22, 2, v39
	v_lshlrev_b32_e32 v50, 2, v42
	s_clause 0x3
	global_load_dwordx4 v[38:41], v22, s[12:13]
	global_load_dword v51, v22, s[12:13] offset:16
	global_load_dwordx4 v[42:45], v50, s[12:13]
	global_load_dword v50, v50, s[12:13] offset:16
	v_mov_b32_e32 v22, 2
	s_waitcnt vmcnt(0)
	s_barrier
	buffer_gl0_inv
	v_lshlrev_b32_sdwa v48, v22, v48 dst_sel:DWORD dst_unused:UNUSED_PAD src0_sel:DWORD src1_sel:BYTE_0
	v_lshlrev_b32_sdwa v49, v22, v49 dst_sel:DWORD dst_unused:UNUSED_PAD src0_sel:DWORD src1_sel:BYTE_0
	v_add3_u32 v46, v46, v48, v26
	v_add3_u32 v47, v47, v49, v26
	v_mul_f16_sdwa v70, v51, v60 dst_sel:DWORD dst_unused:UNUSED_PAD src0_sel:WORD_1 src1_sel:DWORD
	v_mul_f16_sdwa v64, v39, v57 dst_sel:DWORD dst_unused:UNUSED_PAD src0_sel:WORD_1 src1_sel:DWORD
	;; [unrolled: 1-line block ×13, first 2 shown]
	v_mul_f16_sdwa v79, v16, v45 dst_sel:DWORD dst_unused:UNUSED_PAD src0_sel:DWORD src1_sel:WORD_1
	v_mul_f16_sdwa v80, v55, v50 dst_sel:DWORD dst_unused:UNUSED_PAD src0_sel:DWORD src1_sel:WORD_1
	;; [unrolled: 1-line block ×3, first 2 shown]
	v_mul_f16_sdwa v72, v42, v61 dst_sel:DWORD dst_unused:UNUSED_PAD src0_sel:WORD_1 src1_sel:DWORD
	v_mul_f16_sdwa v73, v42, v10 dst_sel:DWORD dst_unused:UNUSED_PAD src0_sel:WORD_1 src1_sel:DWORD
	;; [unrolled: 1-line block ×3, first 2 shown]
	v_fma_f16 v11, v39, v11, -v64
	v_fmac_f16_e32 v65, v39, v57
	v_fma_f16 v17, v40, v17, -v66
	v_fmac_f16_e32 v67, v40, v58
	;; [unrolled: 2-line block ×4, first 2 shown]
	v_mul_f16_sdwa v78, v54, v45 dst_sel:DWORD dst_unused:UNUSED_PAD src0_sel:DWORD src1_sel:WORD_1
	v_fma_f16 v9, v38, v9, -v48
	v_fmac_f16_e32 v49, v38, v56
	v_fmac_f16_e32 v75, v43, v62
	v_fma_f16 v18, v44, v18, -v76
	v_fmac_f16_e32 v77, v44, v63
	v_fmac_f16_e32 v79, v54, v45
	v_fma_f16 v14, v14, v50, -v80
	v_fmac_f16_e32 v81, v55, v50
	v_fma_f16 v10, v42, v10, -v72
	;; [unrolled: 2-line block ×3, first 2 shown]
	v_add_f16_e32 v39, v11, v15
	v_add_f16_e32 v42, v65, v69
	;; [unrolled: 1-line block ×4, first 2 shown]
	v_fma_f16 v16, v16, v45, -v78
	v_add_f16_e32 v38, v36, v11
	v_add_f16_e32 v41, v52, v65
	;; [unrolled: 1-line block ×7, first 2 shown]
	v_sub_f16_e32 v40, v65, v69
	v_sub_f16_e32 v11, v11, v15
	;; [unrolled: 1-line block ×4, first 2 shown]
	v_add_f16_e32 v51, v35, v12
	v_add_f16_e32 v56, v53, v75
	;; [unrolled: 1-line block ×4, first 2 shown]
	v_fmac_f16_e32 v36, -0.5, v39
	v_fmac_f16_e32 v52, -0.5, v42
	;; [unrolled: 1-line block ×4, first 2 shown]
	v_add_f16_e32 v54, v12, v16
	v_sub_f16_e32 v12, v12, v16
	v_sub_f16_e32 v60, v77, v81
	;; [unrolled: 1-line block ×3, first 2 shown]
	v_add_f16_e32 v15, v38, v15
	v_add_f16_e32 v38, v41, v69
	;; [unrolled: 1-line block ×4, first 2 shown]
	v_fmac_f16_e32 v53, -0.5, v57
	v_fmac_f16_e32 v10, -0.5, v59
	;; [unrolled: 1-line block ×3, first 2 shown]
	v_add_f16_e32 v16, v51, v16
	v_add_f16_e32 v41, v56, v79
	;; [unrolled: 1-line block ×4, first 2 shown]
	v_fmamk_f16 v43, v40, 0x3aee, v36
	v_fmac_f16_e32 v36, 0xbaee, v40
	v_fmamk_f16 v40, v11, 0xbaee, v52
	v_fmac_f16_e32 v52, 0x3aee, v11
	v_fmamk_f16 v11, v45, 0x3aee, v9
	v_fmamk_f16 v44, v17, 0xbaee, v49
	v_fmac_f16_e32 v9, 0xbaee, v45
	v_fmac_f16_e32 v49, 0x3aee, v17
	v_sub_f16_e32 v55, v75, v79
	v_fmac_f16_e32 v35, -0.5, v54
	v_add_f16_e32 v17, v15, v13
	v_add_f16_e32 v45, v38, v39
	v_sub_f16_e32 v13, v15, v13
	v_sub_f16_e32 v15, v38, v39
	v_fmamk_f16 v39, v12, 0xbaee, v53
	v_fmac_f16_e32 v53, 0x3aee, v12
	v_fmamk_f16 v12, v60, 0x3aee, v10
	v_fmamk_f16 v48, v18, 0xbaee, v73
	v_fmac_f16_e32 v10, 0xbaee, v60
	v_fmac_f16_e32 v73, 0x3aee, v18
	v_add_f16_e32 v18, v16, v14
	v_add_f16_e32 v50, v41, v42
	v_sub_f16_e32 v14, v16, v14
	v_sub_f16_e32 v16, v41, v42
	v_mul_f16_e32 v41, 0x3aee, v44
	v_mul_f16_e32 v51, 0xbaee, v11
	v_mul_f16_e32 v42, -0.5, v9
	v_mul_f16_e32 v54, -0.5, v49
	v_fmamk_f16 v38, v55, 0x3aee, v35
	v_fmac_f16_e32 v35, 0xbaee, v55
	v_mul_f16_e32 v55, 0x3aee, v48
	v_mul_f16_e32 v57, 0xbaee, v12
	v_mul_f16_e32 v56, -0.5, v10
	v_mul_f16_e32 v58, -0.5, v73
	v_fmac_f16_e32 v41, 0.5, v11
	v_fmac_f16_e32 v51, 0.5, v44
	v_fmac_f16_e32 v42, 0x3aee, v49
	v_fmac_f16_e32 v54, 0xbaee, v9
	v_fmac_f16_e32 v55, 0.5, v12
	v_fmac_f16_e32 v57, 0.5, v48
	v_fmac_f16_e32 v56, 0x3aee, v73
	v_fmac_f16_e32 v58, 0xbaee, v10
	v_add_f16_e32 v9, v43, v41
	v_add_f16_e32 v11, v40, v51
	;; [unrolled: 1-line block ×4, first 2 shown]
	v_pack_b32_f16 v13, v13, v15
	v_pack_b32_f16 v15, v18, v50
	;; [unrolled: 1-line block ×3, first 2 shown]
	v_sub_f16_e32 v16, v43, v41
	v_sub_f16_e32 v18, v36, v42
	;; [unrolled: 1-line block ×4, first 2 shown]
	v_add_f16_e32 v41, v38, v55
	v_add_f16_e32 v43, v39, v57
	;; [unrolled: 1-line block ×4, first 2 shown]
	v_pack_b32_f16 v17, v17, v45
	v_sub_f16_e32 v38, v38, v55
	v_sub_f16_e32 v35, v35, v56
	;; [unrolled: 1-line block ×4, first 2 shown]
	v_pack_b32_f16 v9, v9, v11
	v_pack_b32_f16 v10, v10, v12
	;; [unrolled: 1-line block ×8, first 2 shown]
	ds_write2_b32 v46, v17, v9 offset1:13
	ds_write2_b32 v46, v10, v13 offset0:26 offset1:39
	ds_write2_b32 v46, v11, v12 offset0:52 offset1:65
	ds_write2_b32 v47, v15, v16 offset1:13
	ds_write2_b32 v47, v18, v14 offset0:26 offset1:39
	ds_write2_b32 v47, v36, v35 offset0:52 offset1:65
	s_and_saveexec_b32 s1, s0
	s_cbranch_execz .LBB0_17
; %bb.16:
	v_and_b32_e32 v9, 0xff, v21
	v_mul_lo_u16 v9, 0x4f, v9
	v_lshrrev_b16 v9, 10, v9
	v_mul_lo_u16 v9, v9, 13
	v_sub_nc_u16 v13, v21, v9
	v_mul_u32_u24_sdwa v9, v13, v37 dst_sel:DWORD dst_unused:UNUSED_PAD src0_sel:BYTE_0 src1_sel:DWORD
	v_lshlrev_b32_sdwa v13, v22, v13 dst_sel:DWORD dst_unused:UNUSED_PAD src0_sel:DWORD src1_sel:BYTE_0
	v_lshlrev_b32_e32 v14, 2, v9
	v_add3_u32 v13, 0, v13, v26
	s_clause 0x1
	global_load_dwordx4 v[9:12], v14, s[12:13]
	global_load_dword v14, v14, s[12:13] offset:16
	v_add_nc_u32_e32 v13, 0xc00, v13
	s_waitcnt vmcnt(1)
	v_mul_f16_sdwa v15, v34, v10 dst_sel:DWORD dst_unused:UNUSED_PAD src0_sel:DWORD src1_sel:WORD_1
	v_mul_f16_sdwa v17, v8, v10 dst_sel:DWORD dst_unused:UNUSED_PAD src0_sel:DWORD src1_sel:WORD_1
	;; [unrolled: 1-line block ×3, first 2 shown]
	s_waitcnt vmcnt(0)
	v_mul_f16_sdwa v35, v30, v14 dst_sel:DWORD dst_unused:UNUSED_PAD src0_sel:DWORD src1_sel:WORD_1
	v_mul_f16_sdwa v36, v5, v11 dst_sel:DWORD dst_unused:UNUSED_PAD src0_sel:DWORD src1_sel:WORD_1
	;; [unrolled: 1-line block ×7, first 2 shown]
	v_fma_f16 v8, v8, v10, -v15
	v_fmac_f16_e32 v17, v34, v10
	v_fma_f16 v5, v5, v11, -v22
	v_fma_f16 v10, v29, v14, -v35
	v_fmac_f16_e32 v36, v32, v11
	v_fmac_f16_e32 v37, v30, v14
	v_fma_f16 v6, v6, v12, -v16
	v_fmac_f16_e32 v18, v33, v12
	v_fma_f16 v7, v7, v9, -v21
	v_fmac_f16_e32 v38, v31, v9
	v_add_f16_e32 v12, v5, v10
	v_add_f16_e32 v16, v36, v37
	;; [unrolled: 1-line block ×3, first 2 shown]
	v_sub_f16_e32 v14, v36, v37
	v_sub_f16_e32 v15, v5, v10
	v_add_f16_e32 v21, v28, v17
	v_add_f16_e32 v22, v38, v36
	v_add_f16_e32 v5, v7, v5
	v_fma_f16 v7, -0.5, v12, v7
	v_fma_f16 v12, -0.5, v16, v38
	v_sub_f16_e32 v9, v8, v6
	v_add_f16_e32 v29, v8, v6
	v_add_f16_e32 v8, v27, v8
	v_sub_f16_e32 v17, v17, v18
	v_fma_f16 v11, -0.5, v11, v28
	v_add_f16_e32 v16, v21, v18
	v_add_f16_e32 v18, v22, v37
	;; [unrolled: 1-line block ×3, first 2 shown]
	v_fmamk_f16 v10, v14, 0xbaee, v7
	v_fmamk_f16 v22, v15, 0x3aee, v12
	v_fmac_f16_e32 v12, 0xbaee, v15
	v_fmac_f16_e32 v7, 0x3aee, v14
	v_fma_f16 v21, -0.5, v29, v27
	v_add_f16_e32 v6, v8, v6
	v_fmamk_f16 v8, v9, 0x3aee, v11
	v_fmac_f16_e32 v11, 0xbaee, v9
	v_sub_f16_e32 v9, v16, v18
	v_add_f16_e32 v16, v16, v18
	v_mul_f16_e32 v18, 0xbaee, v7
	v_mul_f16_e32 v27, 0x3aee, v12
	v_fmamk_f16 v14, v17, 0xbaee, v21
	v_fmac_f16_e32 v21, 0x3aee, v17
	v_sub_f16_e32 v15, v6, v5
	v_mul_f16_e32 v17, -0.5, v22
	v_add_f16_e32 v5, v6, v5
	v_mul_f16_e32 v6, -0.5, v10
	v_fmac_f16_e32 v18, 0.5, v12
	v_fmac_f16_e32 v27, 0.5, v7
	v_fmac_f16_e32 v17, 0xbaee, v10
	v_pack_b32_f16 v5, v5, v16
	v_fmac_f16_e32 v6, 0x3aee, v22
	v_sub_f16_e32 v10, v11, v18
	v_add_f16_e32 v11, v11, v18
	v_add_f16_e32 v12, v21, v27
	v_sub_f16_e32 v7, v8, v17
	v_add_f16_e32 v8, v8, v17
	v_add_f16_e32 v16, v14, v6
	v_sub_f16_e32 v17, v21, v27
	v_sub_f16_e32 v6, v14, v6
	v_pack_b32_f16 v11, v12, v11
	v_pack_b32_f16 v9, v15, v9
	;; [unrolled: 1-line block ×5, first 2 shown]
	ds_write2_b32 v13, v5, v11 offset0:168 offset1:181
	ds_write2_b32 v13, v8, v9 offset0:194 offset1:207
	;; [unrolled: 1-line block ×3, first 2 shown]
.LBB0_17:
	s_or_b32 exec_lo, exec_lo, s1
	s_waitcnt lgkmcnt(0)
	s_barrier
	buffer_gl0_inv
	s_and_saveexec_b32 s0, vcc_lo
	s_cbranch_execz .LBB0_19
; %bb.18:
	v_mul_u32_u24_e32 v5, 12, v20
	v_add3_u32 v13, 0, v25, v26
	v_add_nc_u32_e32 v20, 0xa00, v23
	v_add_nc_u32_e32 v14, 0x200, v23
	;; [unrolled: 1-line block ×3, first 2 shown]
	v_lshlrev_b32_e32 v9, 2, v5
	v_add_nc_u32_e32 v26, 0x800, v23
	v_mul_lo_u32 v11, s5, v3
	v_mul_lo_u32 v12, s4, v4
	v_mad_u64_u32 v[3:4], null, s4, v3, 0
	s_clause 0x2
	global_load_dwordx4 v[15:18], v9, s[12:13] offset:260
	global_load_dwordx4 v[5:8], v9, s[12:13] offset:292
	;; [unrolled: 1-line block ×3, first 2 shown]
	v_add_nc_u32_e32 v9, 0xc00, v23
	ds_read2_b32 v[9:10], v9 offset0:90 offset1:168
	ds_read_b32 v35, v24
	ds_read_b32 v36, v13
	ds_read2_b32 v[21:22], v20 offset0:62 offset1:140
	ds_read2_b32 v[23:24], v14 offset0:106 offset1:184
	ds_read_b32 v0, v0
	ds_read2_b32 v[31:32], v25 offset0:134 offset1:212
	ds_read2_b32 v[33:34], v26 offset0:34 offset1:112
	v_add3_u32 v4, v4, v12, v11
	v_lshlrev_b64 v[3:4], 2, v[3:4]
	s_waitcnt vmcnt(2)
	v_lshrrev_b32_e32 v25, 16, v15
	v_lshrrev_b32_e32 v37, 16, v16
	;; [unrolled: 1-line block ×4, first 2 shown]
	s_waitcnt vmcnt(1)
	v_lshrrev_b32_e32 v40, 16, v5
	v_lshrrev_b32_e32 v41, 16, v6
	;; [unrolled: 1-line block ×4, first 2 shown]
	s_waitcnt lgkmcnt(7)
	v_mul_f16_sdwa v11, v8, v10 dst_sel:DWORD dst_unused:UNUSED_PAD src0_sel:DWORD src1_sel:WORD_1
	s_waitcnt lgkmcnt(6)
	v_mul_f16_sdwa v44, v15, v35 dst_sel:DWORD dst_unused:UNUSED_PAD src0_sel:DWORD src1_sel:WORD_1
	v_mul_f16_sdwa v12, v7, v9 dst_sel:DWORD dst_unused:UNUSED_PAD src0_sel:DWORD src1_sel:WORD_1
	s_waitcnt lgkmcnt(5)
	v_mul_f16_sdwa v45, v16, v36 dst_sel:DWORD dst_unused:UNUSED_PAD src0_sel:DWORD src1_sel:WORD_1
	s_waitcnt lgkmcnt(4)
	;; [unrolled: 2-line block ×3, first 2 shown]
	v_mul_f16_sdwa v46, v17, v23 dst_sel:DWORD dst_unused:UNUSED_PAD src0_sel:DWORD src1_sel:WORD_1
	v_mul_f16_sdwa v14, v5, v21 dst_sel:DWORD dst_unused:UNUSED_PAD src0_sel:DWORD src1_sel:WORD_1
	;; [unrolled: 1-line block ×3, first 2 shown]
	s_waitcnt vmcnt(0)
	v_lshrrev_b32_e32 v48, 16, v27
	v_lshrrev_b32_e32 v50, 16, v29
	v_lshrrev_b32_e32 v51, 16, v30
	s_waitcnt lgkmcnt(0)
	v_mul_f16_sdwa v20, v30, v34 dst_sel:DWORD dst_unused:UNUSED_PAD src0_sel:DWORD src1_sel:WORD_1
	v_mul_f16_sdwa v52, v27, v31 dst_sel:DWORD dst_unused:UNUSED_PAD src0_sel:DWORD src1_sel:WORD_1
	;; [unrolled: 1-line block ×4, first 2 shown]
	v_fmac_f16_e32 v11, v10, v43
	v_fmac_f16_e32 v44, v25, v35
	v_mul_f16_sdwa v25, v37, v36 dst_sel:DWORD dst_unused:UNUSED_PAD src0_sel:DWORD src1_sel:WORD_1
	v_mul_f16_sdwa v43, v42, v9 dst_sel:DWORD dst_unused:UNUSED_PAD src0_sel:DWORD src1_sel:WORD_1
	v_fmac_f16_e32 v12, v9, v42
	v_fmac_f16_e32 v45, v37, v36
	v_mul_f16_sdwa v37, v38, v23 dst_sel:DWORD dst_unused:UNUSED_PAD src0_sel:DWORD src1_sel:WORD_1
	v_mul_f16_sdwa v42, v41, v22 dst_sel:DWORD dst_unused:UNUSED_PAD src0_sel:DWORD src1_sel:WORD_1
	;; [unrolled: 4-line block ×4, first 2 shown]
	v_fmac_f16_e32 v20, v34, v51
	v_mul_f16_sdwa v51, v50, v33 dst_sel:DWORD dst_unused:UNUSED_PAD src0_sel:DWORD src1_sel:WORD_1
	v_lshrrev_b32_e32 v49, 16, v28
	v_mul_f16_sdwa v26, v29, v33 dst_sel:DWORD dst_unused:UNUSED_PAD src0_sel:DWORD src1_sel:WORD_1
	v_mul_f16_sdwa v53, v28, v32 dst_sel:DWORD dst_unused:UNUSED_PAD src0_sel:DWORD src1_sel:WORD_1
	v_fmac_f16_e32 v52, v31, v48
	v_fma_f16 v35, v15, v35, -v54
	v_fma_f16 v15, v8, v10, -v55
	v_fma_f16 v31, v27, v31, -v39
	v_fma_f16 v27, v29, v33, -v51
	v_sub_f16_e32 v29, v44, v11
	v_mul_f16_sdwa v48, v49, v32 dst_sel:DWORD dst_unused:UNUSED_PAD src0_sel:DWORD src1_sel:WORD_1
	v_fmac_f16_e32 v26, v33, v50
	v_fmac_f16_e32 v53, v32, v49
	v_fma_f16 v36, v16, v36, -v25
	v_fma_f16 v16, v7, v9, -v43
	;; [unrolled: 1-line block ×5, first 2 shown]
	v_sub_f16_e32 v30, v45, v12
	v_add_f16_e32 v49, v35, v15
	v_mul_f16_e32 v50, 0xb3a8, v29
	v_add_f16_sdwa v39, v44, v0 dst_sel:DWORD dst_unused:UNUSED_PAD src0_sel:DWORD src1_sel:WORD_1
	v_add_f16_e32 v51, v36, v16
	v_mul_f16_e32 v54, 0x3770, v30
	v_mul_f16_e32 v65, 0xbb7b, v29
	;; [unrolled: 1-line block ×3, first 2 shown]
	v_fma_f16 v77, v49, 0xbbc4, -v50
	v_mul_f16_e32 v66, 0x394e, v30
	v_mul_f16_e32 v71, 0xb3a8, v30
	;; [unrolled: 1-line block ×3, first 2 shown]
	v_add_f16_e32 v39, v39, v45
	v_fma_f16 v78, v51, 0x3b15, -v54
	v_fma_f16 v87, v49, 0xb5ac, -v65
	;; [unrolled: 1-line block ×3, first 2 shown]
	v_add_f16_e32 v77, v77, v0
	v_fma_f16 v37, v17, v23, -v37
	v_fma_f16 v17, v6, v22, -v42
	v_add_f16_e32 v8, v46, v13
	v_fma_f16 v28, v28, v32, -v48
	v_sub_f16_e32 v32, v46, v13
	v_sub_f16_e32 v40, v35, v15
	v_mul_f16_e32 v60, 0xb94e, v29
	v_mul_f16_e32 v74, 0xbb7b, v30
	v_mul_f16_e32 v29, 0xb770, v29
	v_fma_f16 v88, v51, 0xb9fd, -v66
	v_add_f16_e32 v39, v39, v46
	v_fma_f16 v46, v51, 0xbbc4, -v71
	v_add_f16_e32 v87, v87, v0
	v_add_f16_e32 v77, v77, v78
	v_fma_f16 v78, v49, 0x388b, -v73
	v_add_f16_e32 v91, v91, v0
	v_add_f16_e32 v10, v44, v11
	v_sub_f16_e32 v41, v36, v16
	v_add_f16_e32 v55, v37, v17
	v_mul_f16_e32 v56, 0xb94e, v32
	v_mul_f16_e32 v61, 0x3bf1, v30
	;; [unrolled: 1-line block ×3, first 2 shown]
	v_add_f16_e32 v35, v35, v0
	v_mul_f16_e32 v80, 0xb94e, v40
	v_add_f16_e32 v39, v39, v47
	v_add_f16_e32 v87, v87, v88
	v_fma_f16 v88, v51, 0xb5ac, -v74
	v_add_f16_e32 v78, v78, v0
	v_add_f16_e32 v46, v91, v46
	v_fma_f16 v91, v49, 0x3b15, -v29
	v_fmac_f16_e32 v50, 0xbbc4, v49
	v_add_f16_e32 v9, v45, v12
	v_add_f16_e32 v6, v52, v20
	v_sub_f16_e32 v34, v52, v20
	v_mul_f16_e32 v45, 0xb3a8, v40
	v_fma_f16 v79, v55, 0xb9fd, -v56
	v_mul_f16_e32 v81, 0x3bf1, v41
	v_fma_f16 v82, v49, 0xb9fd, -v60
	v_mul_f16_e32 v90, 0xbbf1, v40
	v_add_f16_e32 v35, v35, v36
	v_add_f16_e32 v78, v78, v88
	v_fma_f16 v88, v51, 0x388b, -v30
	v_add_f16_e32 v91, v91, v0
	v_fmac_f16_e32 v54, 0x3b15, v51
	v_fmac_f16_e32 v60, 0xb9fd, v49
	v_add_f16_e32 v50, v50, v0
	v_add_f16_e32 v39, v39, v52
	v_fmamk_f16 v52, v10, 0xb9fd, v80
	v_mul_f16_e32 v76, 0x3770, v41
	v_fma_f16 v83, v51, 0x2fb7, -v61
	v_mul_f16_e32 v85, 0xbb7b, v40
	v_mul_f16_e32 v36, 0xb3a8, v41
	v_add_f16_e32 v35, v35, v37
	v_fmac_f16_e32 v61, 0x2fb7, v51
	v_add_f16_e32 v88, v91, v88
	v_fmamk_f16 v91, v10, 0xbbc4, v45
	v_add_f16_e32 v60, v60, v0
	v_add_f16_e32 v50, v50, v54
	v_fmamk_f16 v54, v9, 0x2fb7, v81
	v_add_f16_sdwa v52, v52, v0 dst_sel:DWORD dst_unused:UNUSED_PAD src0_sel:DWORD src1_sel:WORD_1
	v_add_f16_e32 v77, v77, v79
	v_fmamk_f16 v79, v10, 0x2fb7, v90
	v_sub_f16_e32 v42, v37, v17
	v_sub_f16_e32 v43, v38, v18
	v_add_f16_e32 v25, v38, v18
	v_mul_f16_e32 v62, 0xba95, v32
	v_mul_f16_e32 v67, 0x3770, v32
	;; [unrolled: 1-line block ×4, first 2 shown]
	v_add_f16_e32 v82, v82, v0
	v_add_f16_e32 v35, v35, v38
	v_fmamk_f16 v38, v9, 0x3b15, v76
	v_add_f16_sdwa v91, v91, v0 dst_sel:DWORD dst_unused:UNUSED_PAD src0_sel:DWORD src1_sel:WORD_1
	v_add_f16_e32 v60, v60, v61
	v_fmamk_f16 v61, v10, 0xb5ac, v85
	v_add_f16_e32 v52, v52, v54
	v_fmamk_f16 v54, v9, 0xbbc4, v36
	v_add_f16_sdwa v79, v79, v0 dst_sel:DWORD dst_unused:UNUSED_PAD src0_sel:DWORD src1_sel:WORD_1
	v_fma_f16 v85, v10, 0xb5ac, -v85
	v_add_f16_e32 v7, v47, v14
	v_add_f16_e32 v5, v53, v26
	v_sub_f16_e32 v33, v47, v14
	v_sub_f16_e32 v24, v53, v26
	v_mul_f16_e32 v72, 0x3b7b, v32
	v_mul_f16_e32 v32, 0xbbf1, v32
	v_fma_f16 v84, v55, 0x388b, -v62
	v_fma_f16 v89, v55, 0x3b15, -v67
	v_mul_f16_e32 v47, 0xba95, v40
	v_add_f16_e32 v82, v82, v83
	v_mul_f16_e32 v40, 0xb770, v40
	v_add_f16_e32 v38, v91, v38
	v_fmamk_f16 v91, v9, 0xb9fd, v86
	v_add_f16_e32 v54, v79, v54
	v_fma_f16 v79, v55, 0xbbc4, -v75
	v_add_f16_e32 v39, v39, v53
	v_mul_f16_e32 v53, 0xba95, v42
	v_fma_f16 v86, v9, 0xb9fd, -v86
	v_add_f16_sdwa v85, v85, v0 dst_sel:DWORD dst_unused:UNUSED_PAD src0_sel:DWORD src1_sel:WORD_1
	v_mul_f16_e32 v68, 0xbbf1, v33
	v_fma_f16 v37, v55, 0xb5ac, -v72
	v_mul_f16_e32 v83, 0xbb7b, v41
	v_mul_f16_e32 v41, 0xba95, v41
	v_add_f16_sdwa v61, v61, v0 dst_sel:DWORD dst_unused:UNUSED_PAD src0_sel:DWORD src1_sel:WORD_1
	v_add_f16_e32 v82, v82, v84
	v_fmamk_f16 v84, v10, 0x388b, v47
	v_add_f16_e32 v87, v87, v89
	v_fmamk_f16 v89, v10, 0x3b15, v40
	v_add_f16_e32 v78, v78, v79
	v_fma_f16 v79, v55, 0x2fb7, -v32
	v_fma_f16 v80, v10, 0xb9fd, -v80
	v_fmac_f16_e32 v62, 0x388b, v55
	v_add_f16_e32 v85, v85, v86
	v_fmamk_f16 v86, v8, 0x388b, v53
	v_mul_f16_e32 v57, 0x3a95, v33
	v_add_f16_e32 v61, v61, v91
	v_fmamk_f16 v91, v9, 0xb5ac, v83
	v_add_f16_sdwa v84, v84, v0 dst_sel:DWORD dst_unused:UNUSED_PAD src0_sel:DWORD src1_sel:WORD_1
	v_add_f16_e32 v37, v46, v37
	v_fmamk_f16 v46, v9, 0x388b, v41
	v_add_f16_sdwa v89, v89, v0 dst_sel:DWORD dst_unused:UNUSED_PAD src0_sel:DWORD src1_sel:WORD_1
	v_fma_f16 v45, v10, 0xbbc4, -v45
	v_add_f16_e32 v79, v88, v79
	v_mul_f16_e32 v88, 0xb94e, v42
	v_fmac_f16_e32 v56, 0xb9fd, v55
	v_fma_f16 v81, v9, 0x2fb7, -v81
	v_add_f16_sdwa v80, v80, v0 dst_sel:DWORD dst_unused:UNUSED_PAD src0_sel:DWORD src1_sel:WORD_1
	v_add_f16_e32 v60, v60, v62
	v_fma_f16 v62, v25, 0x2fb7, -v68
	v_add_f16_e32 v52, v52, v86
	v_mul_f16_e32 v86, 0xb3a8, v42
	v_sub_f16_e32 v44, v31, v21
	v_add_f16_e32 v23, v31, v21
	v_mul_f16_e32 v63, 0x33a8, v33
	v_add_f16_e32 v84, v84, v91
	v_mul_f16_e32 v91, 0x3770, v33
	;; [unrolled: 2-line block ×3, first 2 shown]
	v_mul_f16_e32 v33, 0xbb7b, v33
	v_add_f16_e32 v31, v35, v31
	v_fma_f16 v35, v25, 0x388b, -v57
	v_fma_f16 v76, v9, 0x3b15, -v76
	v_add_f16_sdwa v45, v45, v0 dst_sel:DWORD dst_unused:UNUSED_PAD src0_sel:DWORD src1_sel:WORD_1
	v_add_f16_e32 v50, v50, v56
	v_mul_f16_e32 v56, 0x3770, v42
	v_add_f16_e32 v80, v80, v81
	v_fmamk_f16 v81, v8, 0xb9fd, v88
	v_add_f16_e32 v62, v87, v62
	v_fmamk_f16 v87, v8, 0xbbc4, v86
	v_add_f16_e32 v45, v45, v76
	v_fma_f16 v76, v25, 0xbbc4, -v63
	v_add_f16_e32 v38, v38, v81
	v_mul_f16_e32 v81, 0x3b7b, v42
	v_add_f16_e32 v35, v77, v35
	v_fmamk_f16 v77, v8, 0x3b15, v56
	v_add_f16_e32 v84, v84, v87
	v_fma_f16 v87, v25, 0xb5ac, -v33
	v_add_f16_e32 v26, v39, v26
	v_mul_f16_e32 v39, 0x33a8, v43
	v_fma_f16 v56, v8, 0x3b15, -v56
	v_mul_f16_e32 v69, 0x33a8, v34
	v_add_f16_e32 v76, v82, v76
	v_fmamk_f16 v82, v8, 0xb5ac, v81
	v_add_f16_e32 v61, v61, v77
	v_fma_f16 v77, v25, 0x3b15, -v91
	v_mul_f16_e32 v42, 0xbbf1, v42
	v_add_f16_e32 v79, v79, v87
	v_mul_f16_e32 v87, 0x3a95, v43
	v_fma_f16 v53, v8, 0x388b, -v53
	v_fmac_f16_e32 v63, 0xbbc4, v25
	v_add_f16_e32 v56, v85, v56
	v_fmamk_f16 v85, v7, 0xbbc4, v39
	v_mul_f16_e32 v58, 0xbb7b, v34
	v_mul_f16_e32 v64, 0x3770, v34
	v_add_f16_e32 v54, v54, v82
	v_fma_f16 v82, v25, 0xb9fd, -v89
	v_add_f16_e32 v37, v37, v77
	v_fmamk_f16 v77, v8, 0x2fb7, v42
	v_fma_f16 v88, v8, 0xb9fd, -v88
	v_fmac_f16_e32 v57, 0x388b, v25
	v_add_f16_e32 v53, v80, v53
	v_fmamk_f16 v80, v7, 0x388b, v87
	v_add_f16_e32 v60, v60, v63
	v_fma_f16 v63, v23, 0xbbc4, -v69
	v_add_f16_e32 v52, v52, v85
	v_mul_f16_e32 v85, 0x394e, v43
	v_sub_f16_e32 v48, v28, v27
	v_add_f16_e32 v22, v28, v27
	v_add_f16_e32 v78, v78, v82
	v_mul_f16_e32 v82, 0xba95, v34
	v_add_f16_e32 v46, v46, v77
	v_mul_f16_e32 v77, 0x3bf1, v34
	v_mul_f16_e32 v34, 0xb94e, v34
	v_add_f16_e32 v28, v31, v28
	v_fma_f16 v31, v23, 0xb5ac, -v58
	v_add_f16_e32 v45, v45, v88
	v_fma_f16 v88, v23, 0x3b15, -v64
	v_add_f16_e32 v50, v50, v57
	v_mul_f16_e32 v57, 0xbbf1, v43
	v_add_f16_e32 v38, v38, v80
	v_mul_f16_e32 v80, 0x3770, v43
	v_add_f16_e32 v62, v62, v63
	v_fmamk_f16 v63, v7, 0xb9fd, v85
	v_add_f16_e32 v31, v35, v31
	v_fmamk_f16 v35, v7, 0x2fb7, v57
	;; [unrolled: 2-line block ×3, first 2 shown]
	v_add_f16_e32 v63, v84, v63
	v_fma_f16 v84, v23, 0xb9fd, -v34
	v_add_f16_e32 v35, v61, v35
	v_fma_f16 v61, v23, 0x388b, -v82
	v_mul_f16_e32 v43, 0xbb7b, v43
	v_add_f16_e32 v54, v54, v88
	v_fma_f16 v88, v23, 0x2fb7, -v77
	v_add_f16_e32 v79, v79, v84
	v_mul_f16_e32 v84, 0xbb7b, v44
	v_fma_f16 v87, v7, 0x388b, -v87
	v_mul_f16_e32 v59, 0x3bf1, v24
	v_add_f16_e32 v37, v37, v61
	v_fmamk_f16 v61, v7, 0xb5ac, v43
	v_add_f16_e32 v78, v78, v88
	v_mul_f16_e32 v88, 0xbb7b, v24
	v_fmac_f16_e32 v58, 0xb5ac, v23
	v_add_f16_e32 v20, v20, v26
	v_mul_f16_e32 v26, 0x3770, v44
	v_fma_f16 v39, v7, 0xbbc4, -v39
	v_add_f16_e32 v45, v45, v87
	v_fmamk_f16 v87, v6, 0xb5ac, v84
	v_add_f16_e32 v46, v46, v61
	v_mul_f16_e32 v61, 0x3a95, v24
	v_add_f16_e32 v27, v28, v27
	v_fma_f16 v28, v22, 0x2fb7, -v59
	v_add_f16_e32 v50, v50, v58
	v_mul_f16_e32 v58, 0x33a8, v44
	v_add_f16_e32 v39, v53, v39
	v_fmamk_f16 v53, v6, 0x3b15, v26
	v_add_f16_e32 v38, v38, v87
	v_fma_f16 v87, v22, 0xb5ac, -v88
	v_add_f16_e32 v28, v31, v28
	v_mul_f16_e32 v31, 0xba95, v44
	v_add_f16_e32 v52, v52, v53
	v_fmamk_f16 v53, v6, 0xbbc4, v58
	v_add_f16_e32 v76, v76, v87
	v_fma_f16 v87, v22, 0x388b, -v61
	v_add_f16_e32 v21, v21, v27
	v_add_f16_e32 v14, v14, v20
	;; [unrolled: 1-line block ×3, first 2 shown]
	v_fmamk_f16 v53, v6, 0x388b, v31
	v_add_f16_e32 v62, v62, v87
	v_mul_f16_e32 v87, 0xb94e, v24
	v_add_f16_e32 v18, v18, v21
	v_fma_f16 v27, v6, 0xb5ac, -v84
	v_add_f16_e32 v53, v54, v53
	v_fmac_f16_e32 v59, 0x2fb7, v22
	v_fma_f16 v54, v22, 0xb9fd, -v87
	v_mul_f16_e32 v20, 0x3bf1, v48
	v_add_f16_e32 v13, v13, v14
	v_add_f16_e32 v17, v17, v18
	;; [unrolled: 1-line block ×4, first 2 shown]
	v_mul_f16_e32 v54, 0x3bf1, v44
	v_add_f16_e32 v50, v50, v59
	v_fmamk_f16 v59, v5, 0x2fb7, v20
	v_fmac_f16_e32 v65, 0xb5ac, v49
	v_fma_f16 v20, v5, 0x2fb7, -v20
	v_fma_f16 v57, v7, 0x2fb7, -v57
	v_add_f16_e32 v12, v12, v13
	v_add_f16_e32 v13, v16, v17
	v_fmamk_f16 v92, v6, 0x2fb7, v54
	v_mul_f16_e32 v45, 0xbb7b, v48
	v_fma_f16 v26, v6, 0x3b15, -v26
	v_add_f16_e32 v38, v38, v59
	v_mul_f16_e32 v59, 0x3a95, v48
	v_add_f16_e32 v17, v27, v20
	v_add_f16_e32 v11, v11, v12
	v_add_f16_e32 v12, v15, v13
	v_add_f16_e32 v13, v56, v57
	v_fma_f16 v15, v6, 0xbbc4, -v58
	v_add_f16_e32 v20, v65, v0
	v_fmac_f16_e32 v66, 0xb9fd, v51
	v_add_f16_e32 v63, v63, v92
	v_mul_f16_e32 v92, 0x3770, v24
	v_add_f16_e32 v26, v39, v26
	v_fmamk_f16 v39, v5, 0xb5ac, v45
	v_add_f16_e32 v13, v13, v15
	v_fma_f16 v15, v5, 0x388b, -v59
	v_add_f16_e32 v20, v20, v66
	v_fmac_f16_e32 v67, 0x3b15, v55
	v_fma_f16 v93, v22, 0x3b15, -v92
	v_mul_f16_e32 v44, 0xb94e, v44
	v_add_f16_e32 v39, v52, v39
	v_fmamk_f16 v52, v5, 0x388b, v59
	v_fma_f16 v27, v10, 0x2fb7, -v90
	v_add_f16_e32 v15, v13, v15
	v_fmac_f16_e32 v70, 0x2fb7, v49
	v_add_f16_e32 v13, v20, v67
	v_fmac_f16_e32 v68, 0x2fb7, v25
	v_add_f16_e32 v78, v78, v93
	v_fmamk_f16 v93, v6, 0xb9fd, v44
	v_add_f16_e32 v35, v35, v52
	v_mul_f16_e32 v52, 0xb94e, v48
	v_mul_f16_e32 v21, 0x3770, v48
	;; [unrolled: 1-line block ×3, first 2 shown]
	v_add_f16_sdwa v20, v27, v0 dst_sel:DWORD dst_unused:UNUSED_PAD src0_sel:DWORD src1_sel:WORD_1
	v_fma_f16 v27, v9, 0xbbc4, -v36
	v_add_f16_e32 v36, v70, v0
	v_fmac_f16_e32 v71, 0xbbc4, v51
	v_add_f16_e32 v13, v13, v68
	v_fmac_f16_e32 v69, 0xbbc4, v23
	v_add_f16_e32 v46, v46, v93
	v_fmamk_f16 v18, v5, 0xbbc4, v48
	v_fma_f16 v45, v5, 0xb5ac, -v45
	v_add_f16_e32 v20, v20, v27
	v_fma_f16 v27, v8, 0xb5ac, -v81
	v_add_f16_e32 v36, v36, v71
	v_fmac_f16_e32 v72, 0xb5ac, v55
	v_add_f16_e32 v13, v13, v69
	v_fmac_f16_e32 v61, 0x388b, v22
	v_add_f16_e32 v16, v46, v18
	v_add_f16_e32 v18, v26, v45
	;; [unrolled: 1-line block ×3, first 2 shown]
	v_fma_f16 v27, v7, 0x3b15, -v80
	v_add_f16_e32 v36, v36, v72
	v_fmac_f16_e32 v91, 0x3b15, v25
	v_add_f16_e32 v45, v13, v61
	v_fma_f16 v13, v10, 0x388b, -v47
	v_add_f16_e32 v20, v20, v27
	v_fma_f16 v27, v6, 0x388b, -v31
	;; [unrolled: 2-line block ×3, first 2 shown]
	v_add_f16_sdwa v13, v13, v0 dst_sel:DWORD dst_unused:UNUSED_PAD src0_sel:DWORD src1_sel:WORD_1
	v_fmac_f16_e32 v73, 0x388b, v49
	v_fma_f16 v10, v10, 0x3b15, -v40
	v_fmac_f16_e32 v82, 0x388b, v23
	v_fmac_f16_e32 v74, 0xb5ac, v51
	v_add_f16_e32 v13, v13, v36
	v_fma_f16 v36, v8, 0xbbc4, -v86
	v_add_f16_sdwa v10, v10, v0 dst_sel:DWORD dst_unused:UNUSED_PAD src0_sel:DWORD src1_sel:WORD_1
	v_fma_f16 v9, v9, 0x388b, -v41
	v_add_f16_e32 v20, v20, v27
	v_fma_f16 v27, v5, 0xb9fd, -v52
	v_add_f16_e32 v13, v13, v36
	v_add_f16_e32 v36, v73, v0
	;; [unrolled: 1-line block ×3, first 2 shown]
	v_fmac_f16_e32 v87, 0xb9fd, v22
	v_fmac_f16_e32 v75, 0xbbc4, v55
	;; [unrolled: 1-line block ×3, first 2 shown]
	v_add_f16_e32 v36, v36, v74
	v_add_f16_e32 v9, v10, v9
	v_fma_f16 v8, v8, 0x2fb7, -v42
	v_add_f16_e32 v20, v20, v27
	v_add_f16_e32 v27, v31, v87
	v_fma_f16 v31, v7, 0xb9fd, -v85
	v_add_f16_e32 v10, v36, v75
	v_fmac_f16_e32 v89, 0xb9fd, v25
	v_add_f16_e32 v0, v29, v0
	v_fmac_f16_e32 v30, 0x388b, v51
	v_add_f16_e32 v8, v9, v8
	v_fma_f16 v7, v7, 0xb5ac, -v43
	v_add_f16_e32 v13, v13, v31
	v_fma_f16 v31, v6, 0x2fb7, -v54
	v_add_f16_e32 v9, v10, v89
	v_fmac_f16_e32 v77, 0x2fb7, v23
	v_add_f16_e32 v0, v0, v30
	v_fmac_f16_e32 v32, 0x2fb7, v55
	v_add_f16_e32 v10, v8, v7
	v_mad_u64_u32 v[7:8], null, s2, v19, 0
	v_add_f16_e32 v13, v13, v31
	v_fma_f16 v6, v6, 0xb9fd, -v44
	v_add_f16_e32 v29, v9, v77
	v_add_f16_e32 v9, v0, v32
	v_fmac_f16_e32 v33, 0xb5ac, v25
	v_add_nc_u32_e32 v31, 0x4e, v19
	v_add_f16_e32 v25, v10, v6
	v_mov_b32_e32 v0, v8
	v_mul_f16_e32 v24, 0xb3a8, v24
	v_add_f16_e32 v8, v9, v33
	v_mad_u64_u32 v[9:10], null, s2, v31, 0
	v_fmamk_f16 v84, v5, 0xb9fd, v52
	v_fmamk_f16 v14, v5, 0x3b15, v21
	v_fma_f16 v21, v5, 0x3b15, -v21
	v_fma_f16 v30, v5, 0xbbc4, -v48
	v_mad_u64_u32 v[5:6], null, s3, v19, v[0:1]
	v_lshlrev_b64 v[1:2], 2, v[1:2]
	v_mov_b32_e32 v0, v10
	v_fma_f16 v93, v22, 0xbbc4, -v24
	v_fmac_f16_e32 v88, 0xb5ac, v22
	v_fmac_f16_e32 v92, 0x3b15, v22
	v_fmac_f16_e32 v34, 0xb9fd, v23
	v_fmac_f16_e32 v24, 0xbbc4, v22
	v_add_co_u32 v6, vcc_lo, s10, v3
	v_add_nc_u32_e32 v22, 0x9c, v19
	v_add_co_ci_u32_e32 v10, vcc_lo, s11, v4, vcc_lo
	v_mad_u64_u32 v[3:4], null, s3, v31, v[0:1]
	v_add_f16_e32 v21, v13, v21
	v_add_f16_e32 v13, v8, v34
	v_mov_b32_e32 v8, v5
	v_mad_u64_u32 v[4:5], null, s2, v22, 0
	v_add_nc_u32_e32 v31, 0xea, v19
	v_fmac_f16_e32 v64, 0x3b15, v23
	v_add_f16_e32 v23, v29, v92
	v_add_co_u32 v29, vcc_lo, v6, v1
	v_add_f16_e32 v25, v25, v30
	v_add_co_ci_u32_e32 v30, vcc_lo, v10, v2, vcc_lo
	v_mov_b32_e32 v10, v3
	v_lshlrev_b64 v[0:1], 2, v[7:8]
	v_mad_u64_u32 v[6:7], null, s2, v31, 0
	v_mov_b32_e32 v2, v5
	v_lshlrev_b64 v[8:9], 2, v[9:10]
	v_add_f16_e32 v79, v79, v93
	v_add_co_u32 v0, vcc_lo, v29, v0
	v_mad_u64_u32 v[2:3], null, s3, v22, v[2:3]
	v_mov_b32_e32 v3, v7
	v_add_co_ci_u32_e32 v1, vcc_lo, v30, v1, vcc_lo
	v_add_co_u32 v7, vcc_lo, v29, v8
	v_pack_b32_f16 v11, v12, v11
	v_add_co_ci_u32_e32 v8, vcc_lo, v30, v9, vcc_lo
	v_pack_b32_f16 v12, v79, v16
	v_mad_u64_u32 v[9:10], null, s3, v31, v[3:4]
	v_mov_b32_e32 v5, v2
	global_store_dword v[0:1], v11, off
	global_store_dword v[7:8], v12, off
	v_add_nc_u32_e32 v10, 0x138, v19
	v_add_nc_u32_e32 v12, 0x186, v19
	v_add_f16_e32 v14, v63, v14
	v_lshlrev_b64 v[0:1], 2, v[4:5]
	v_mov_b32_e32 v7, v9
	v_mad_u64_u32 v[2:3], null, s2, v10, 0
	v_mad_u64_u32 v[4:5], null, s2, v12, 0
	v_add_f16_e32 v16, v13, v24
	v_pack_b32_f16 v13, v78, v14
	v_add_nc_u32_e32 v14, 0x1d4, v19
	v_lshlrev_b64 v[6:7], 2, v[6:7]
	v_add_co_u32 v0, vcc_lo, v29, v0
	v_mad_u64_u32 v[10:11], null, s3, v10, v[3:4]
	v_mad_u64_u32 v[8:9], null, s2, v14, 0
	;; [unrolled: 1-line block ×3, first 2 shown]
	v_add_f16_e32 v53, v53, v84
	v_add_co_ci_u32_e32 v1, vcc_lo, v30, v1, vcc_lo
	v_mov_b32_e32 v3, v10
	v_mad_u64_u32 v[9:10], null, s3, v14, v[9:10]
	v_add_co_u32 v6, vcc_lo, v29, v6
	v_mov_b32_e32 v5, v11
	v_add_nc_u32_e32 v10, 0x222, v19
	v_add_co_ci_u32_e32 v7, vcc_lo, v30, v7, vcc_lo
	v_pack_b32_f16 v12, v37, v53
	global_store_dword v[0:1], v13, off
	v_lshlrev_b64 v[0:1], 2, v[2:3]
	v_lshlrev_b64 v[2:3], 2, v[4:5]
	v_mad_u64_u32 v[4:5], null, s2, v10, 0
	global_store_dword v[6:7], v12, off
	v_lshlrev_b64 v[6:7], 2, v[8:9]
	v_add_co_u32 v0, vcc_lo, v29, v0
	v_add_co_ci_u32_e32 v1, vcc_lo, v30, v1, vcc_lo
	v_add_co_u32 v2, vcc_lo, v29, v2
	v_add_co_ci_u32_e32 v3, vcc_lo, v30, v3, vcc_lo
	v_mad_u64_u32 v[8:9], null, s3, v10, v[5:6]
	v_add_co_u32 v6, vcc_lo, v29, v6
	v_pack_b32_f16 v11, v62, v35
	v_pack_b32_f16 v9, v76, v39
	v_add_co_ci_u32_e32 v7, vcc_lo, v30, v7, vcc_lo
	v_pack_b32_f16 v10, v28, v38
	global_store_dword v[0:1], v11, off
	v_mov_b32_e32 v5, v8
	global_store_dword v[2:3], v9, off
	v_add_nc_u32_e32 v8, 0x270, v19
	global_store_dword v[6:7], v10, off
	v_add_nc_u32_e32 v10, 0x2be, v19
	v_add_nc_u32_e32 v12, 0x30c, v19
	v_lshlrev_b64 v[0:1], 2, v[4:5]
	v_mad_u64_u32 v[2:3], null, s2, v8, 0
	v_mad_u64_u32 v[4:5], null, s2, v10, 0
	;; [unrolled: 1-line block ×3, first 2 shown]
	v_add_nc_u32_e32 v14, 0x35a, v19
	v_add_co_u32 v0, vcc_lo, v29, v0
	v_add_co_ci_u32_e32 v1, vcc_lo, v30, v1, vcc_lo
	v_mad_u64_u32 v[8:9], null, s3, v8, v[3:4]
	v_mad_u64_u32 v[9:10], null, s3, v10, v[5:6]
	v_mov_b32_e32 v5, v7
	v_mad_u64_u32 v[10:11], null, s2, v14, 0
	v_pack_b32_f16 v13, v50, v17
	v_mov_b32_e32 v3, v8
	v_mad_u64_u32 v[7:8], null, s3, v12, v[5:6]
	v_add_nc_u32_e32 v12, 0x3a8, v19
	v_mov_b32_e32 v5, v9
	global_store_dword v[0:1], v13, off
	v_lshlrev_b64 v[0:1], 2, v[2:3]
	v_mov_b32_e32 v2, v11
	v_mad_u64_u32 v[8:9], null, s2, v12, 0
	v_lshlrev_b64 v[4:5], 2, v[4:5]
	v_add_f16_e32 v26, v60, v64
	v_mad_u64_u32 v[2:3], null, s3, v14, v[2:3]
	v_add_co_u32 v0, vcc_lo, v29, v0
	v_mov_b32_e32 v3, v9
	v_add_co_ci_u32_e32 v1, vcc_lo, v30, v1, vcc_lo
	v_lshlrev_b64 v[6:7], 2, v[6:7]
	v_mov_b32_e32 v11, v2
	v_mad_u64_u32 v[12:13], null, s3, v12, v[3:4]
	v_add_co_u32 v2, vcc_lo, v29, v4
	v_add_co_ci_u32_e32 v3, vcc_lo, v30, v5, vcc_lo
	v_lshlrev_b64 v[4:5], 2, v[10:11]
	v_add_f16_e32 v26, v26, v88
	v_mov_b32_e32 v9, v12
	v_add_co_u32 v6, vcc_lo, v29, v6
	v_add_co_ci_u32_e32 v7, vcc_lo, v30, v7, vcc_lo
	v_lshlrev_b64 v[8:9], 2, v[8:9]
	v_add_co_u32 v4, vcc_lo, v29, v4
	v_pack_b32_f16 v14, v26, v18
	v_pack_b32_f16 v13, v45, v15
	v_add_co_ci_u32_e32 v5, vcc_lo, v30, v5, vcc_lo
	v_pack_b32_f16 v10, v27, v20
	v_add_co_u32 v8, vcc_lo, v29, v8
	v_pack_b32_f16 v11, v23, v21
	v_add_co_ci_u32_e32 v9, vcc_lo, v30, v9, vcc_lo
	v_pack_b32_f16 v12, v16, v25
	global_store_dword v[0:1], v14, off
	global_store_dword v[2:3], v13, off
	;; [unrolled: 1-line block ×5, first 2 shown]
.LBB0_19:
	s_endpgm
	.section	.rodata,"a",@progbits
	.p2align	6, 0x0
	.amdhsa_kernel fft_rtc_fwd_len1014_factors_13_6_13_wgs_156_tpt_78_half_op_CI_CI_sbrr_dirReg
		.amdhsa_group_segment_fixed_size 0
		.amdhsa_private_segment_fixed_size 0
		.amdhsa_kernarg_size 104
		.amdhsa_user_sgpr_count 6
		.amdhsa_user_sgpr_private_segment_buffer 1
		.amdhsa_user_sgpr_dispatch_ptr 0
		.amdhsa_user_sgpr_queue_ptr 0
		.amdhsa_user_sgpr_kernarg_segment_ptr 1
		.amdhsa_user_sgpr_dispatch_id 0
		.amdhsa_user_sgpr_flat_scratch_init 0
		.amdhsa_user_sgpr_private_segment_size 0
		.amdhsa_wavefront_size32 1
		.amdhsa_uses_dynamic_stack 0
		.amdhsa_system_sgpr_private_segment_wavefront_offset 0
		.amdhsa_system_sgpr_workgroup_id_x 1
		.amdhsa_system_sgpr_workgroup_id_y 0
		.amdhsa_system_sgpr_workgroup_id_z 0
		.amdhsa_system_sgpr_workgroup_info 0
		.amdhsa_system_vgpr_workitem_id 0
		.amdhsa_next_free_vgpr 94
		.amdhsa_next_free_sgpr 31
		.amdhsa_reserve_vcc 1
		.amdhsa_reserve_flat_scratch 0
		.amdhsa_float_round_mode_32 0
		.amdhsa_float_round_mode_16_64 0
		.amdhsa_float_denorm_mode_32 3
		.amdhsa_float_denorm_mode_16_64 3
		.amdhsa_dx10_clamp 1
		.amdhsa_ieee_mode 1
		.amdhsa_fp16_overflow 0
		.amdhsa_workgroup_processor_mode 1
		.amdhsa_memory_ordered 1
		.amdhsa_forward_progress 0
		.amdhsa_shared_vgpr_count 0
		.amdhsa_exception_fp_ieee_invalid_op 0
		.amdhsa_exception_fp_denorm_src 0
		.amdhsa_exception_fp_ieee_div_zero 0
		.amdhsa_exception_fp_ieee_overflow 0
		.amdhsa_exception_fp_ieee_underflow 0
		.amdhsa_exception_fp_ieee_inexact 0
		.amdhsa_exception_int_div_zero 0
	.end_amdhsa_kernel
	.text
.Lfunc_end0:
	.size	fft_rtc_fwd_len1014_factors_13_6_13_wgs_156_tpt_78_half_op_CI_CI_sbrr_dirReg, .Lfunc_end0-fft_rtc_fwd_len1014_factors_13_6_13_wgs_156_tpt_78_half_op_CI_CI_sbrr_dirReg
                                        ; -- End function
	.section	.AMDGPU.csdata,"",@progbits
; Kernel info:
; codeLenInByte = 11600
; NumSgprs: 33
; NumVgprs: 94
; ScratchSize: 0
; MemoryBound: 0
; FloatMode: 240
; IeeeMode: 1
; LDSByteSize: 0 bytes/workgroup (compile time only)
; SGPRBlocks: 4
; VGPRBlocks: 11
; NumSGPRsForWavesPerEU: 33
; NumVGPRsForWavesPerEU: 94
; Occupancy: 10
; WaveLimiterHint : 1
; COMPUTE_PGM_RSRC2:SCRATCH_EN: 0
; COMPUTE_PGM_RSRC2:USER_SGPR: 6
; COMPUTE_PGM_RSRC2:TRAP_HANDLER: 0
; COMPUTE_PGM_RSRC2:TGID_X_EN: 1
; COMPUTE_PGM_RSRC2:TGID_Y_EN: 0
; COMPUTE_PGM_RSRC2:TGID_Z_EN: 0
; COMPUTE_PGM_RSRC2:TIDIG_COMP_CNT: 0
	.text
	.p2alignl 6, 3214868480
	.fill 48, 4, 3214868480
	.type	__hip_cuid_d348cb2a08da1b46,@object ; @__hip_cuid_d348cb2a08da1b46
	.section	.bss,"aw",@nobits
	.globl	__hip_cuid_d348cb2a08da1b46
__hip_cuid_d348cb2a08da1b46:
	.byte	0                               ; 0x0
	.size	__hip_cuid_d348cb2a08da1b46, 1

	.ident	"AMD clang version 19.0.0git (https://github.com/RadeonOpenCompute/llvm-project roc-6.4.0 25133 c7fe45cf4b819c5991fe208aaa96edf142730f1d)"
	.section	".note.GNU-stack","",@progbits
	.addrsig
	.addrsig_sym __hip_cuid_d348cb2a08da1b46
	.amdgpu_metadata
---
amdhsa.kernels:
  - .args:
      - .actual_access:  read_only
        .address_space:  global
        .offset:         0
        .size:           8
        .value_kind:     global_buffer
      - .offset:         8
        .size:           8
        .value_kind:     by_value
      - .actual_access:  read_only
        .address_space:  global
        .offset:         16
        .size:           8
        .value_kind:     global_buffer
      - .actual_access:  read_only
        .address_space:  global
        .offset:         24
        .size:           8
        .value_kind:     global_buffer
      - .actual_access:  read_only
        .address_space:  global
        .offset:         32
        .size:           8
        .value_kind:     global_buffer
      - .offset:         40
        .size:           8
        .value_kind:     by_value
      - .actual_access:  read_only
        .address_space:  global
        .offset:         48
        .size:           8
        .value_kind:     global_buffer
      - .actual_access:  read_only
        .address_space:  global
        .offset:         56
        .size:           8
        .value_kind:     global_buffer
      - .offset:         64
        .size:           4
        .value_kind:     by_value
      - .actual_access:  read_only
        .address_space:  global
        .offset:         72
        .size:           8
        .value_kind:     global_buffer
      - .actual_access:  read_only
        .address_space:  global
        .offset:         80
        .size:           8
        .value_kind:     global_buffer
      - .actual_access:  read_only
        .address_space:  global
        .offset:         88
        .size:           8
        .value_kind:     global_buffer
      - .actual_access:  write_only
        .address_space:  global
        .offset:         96
        .size:           8
        .value_kind:     global_buffer
    .group_segment_fixed_size: 0
    .kernarg_segment_align: 8
    .kernarg_segment_size: 104
    .language:       OpenCL C
    .language_version:
      - 2
      - 0
    .max_flat_workgroup_size: 156
    .name:           fft_rtc_fwd_len1014_factors_13_6_13_wgs_156_tpt_78_half_op_CI_CI_sbrr_dirReg
    .private_segment_fixed_size: 0
    .sgpr_count:     33
    .sgpr_spill_count: 0
    .symbol:         fft_rtc_fwd_len1014_factors_13_6_13_wgs_156_tpt_78_half_op_CI_CI_sbrr_dirReg.kd
    .uniform_work_group_size: 1
    .uses_dynamic_stack: false
    .vgpr_count:     94
    .vgpr_spill_count: 0
    .wavefront_size: 32
    .workgroup_processor_mode: 1
amdhsa.target:   amdgcn-amd-amdhsa--gfx1030
amdhsa.version:
  - 1
  - 2
...

	.end_amdgpu_metadata
